;; amdgpu-corpus repo=llvm/llvm-project kind=harvested arch=n/a opt=n/a
// NOTE: Assertions have been autogenerated by utils/update_mc_test_checks.py UTC_ARGS: --unique --version 5
// RUN: not llvm-mc -triple=amdgcn -mcpu=tahiti -show-encoding %s | FileCheck %s --check-prefix=SICI
// RUN: not llvm-mc -triple=amdgcn -mcpu=bonaire -show-encoding %s | FileCheck %s --check-prefixes=SICI,CI
// RUN: not llvm-mc -triple=amdgcn -mcpu=tonga -show-encoding %s | FileCheck %s --check-prefixes=GFX8PLUS,GFX89
// RUN: not llvm-mc -triple=amdgcn -mcpu=gfx900 -show-encoding %s | FileCheck %s --check-prefixes=GFX8PLUS,GFX89,GFX9
// RUN: not llvm-mc -triple=amdgcn -mcpu=gfx1100 -show-encoding %s | FileCheck %s --check-prefixes=GFX8PLUS,GFX11
// RUN: not llvm-mc -triple=amdgcn -mcpu=gfx1200 -show-encoding %s | FileCheck %s --check-prefixes=GFX8PLUS,GFX12XX,GFX12
// RUN: not llvm-mc -triple=amdgcn -mcpu=gfx1250 -mattr=+real-true16 -show-encoding %s | FileCheck %s --check-prefixes=GFX8PLUS,GFX12XX,GFX1250,GFX1250-ASM
// RUN: not llvm-mc -triple=amdgcn -mcpu=gfx1250 -mattr=+real-true16 -show-encoding %s | %extract-encodings | llvm-mc -triple=amdgcn -mcpu=gfx1250 -mattr=+real-true16 -disassemble -show-encoding | FileCheck %s --check-prefixes=GFX8PLUS,GFX12XX,GFX1250,GFX1250-DIS

// RUN: not llvm-mc -triple=amdgcn -mcpu=tahiti %s -filetype=null 2>&1 | FileCheck %s --check-prefixes=NOGCN,NOSICI,NOSI --implicit-check-not=error:
// RUN: not llvm-mc -triple=amdgcn -mcpu=bonaire %s -filetype=null 2>&1 | FileCheck %s --check-prefixes=NOGCN,NOSICI,NOCI --implicit-check-not=error:
// RUN: not llvm-mc -triple=amdgcn -mcpu=tonga %s -filetype=null 2>&1 | FileCheck %s --check-prefixes=NOGCN,NOGFX89,NOVI --implicit-check-not=error:
// RUN: not llvm-mc -triple=amdgcn -mcpu=gfx900 %s -filetype=null 2>&1 | FileCheck %s --check-prefixes=NOGCN,NOGFX89,NOGFX9 --implicit-check-not=error:
// RUN: not llvm-mc -triple=amdgcn -mcpu=gfx1100 %s -filetype=null 2>&1 | FileCheck %s --check-prefixes=NOGCN,NOGFX11 --implicit-check-not=error:
// RUN: not llvm-mc -triple=amdgcn -mcpu=gfx1200 %s -filetype=null 2>&1 | FileCheck %s --check-prefixes=NOGCN,NOGFX12 --implicit-check-not=error:
// RUN: not llvm-mc -triple=amdgcn -mcpu=gfx1250 %s -mattr=+real-true16 -filetype=null 2>&1 | FileCheck %s --check-prefixes=NOGCN,NOGFX1250 --implicit-check-not=error:

//---------------------------------------------------------------------------//
// fp literal, expected fp operand
//---------------------------------------------------------------------------//

v_fract_f64 v[0:1], 0.5
// GFX11: v_fract_f64_e32 v[0:1], 0.5             ; encoding: [0xf0,0x7c,0x00,0x7e]
// GFX12XX: v_fract_f64_e32 v[0:1], 0.5             ; encoding: [0xf0,0x7c,0x00,0x7e]
// GFX89: v_fract_f64_e32 v[0:1], 0.5             ; encoding: [0xf0,0x64,0x00,0x7e]
// SICI: v_fract_f64_e32 v[0:1], 0.5             ; encoding: [0xf0,0x7c,0x00,0x7e]

v_sqrt_f64 v[0:1], -4.0
// GFX11: v_sqrt_f64_e32 v[0:1], -4.0             ; encoding: [0xf7,0x68,0x00,0x7e]
// GFX12XX: v_sqrt_f64_e32 v[0:1], -4.0             ; encoding: [0xf7,0x68,0x00,0x7e]
// GFX89: v_sqrt_f64_e32 v[0:1], -4.0             ; encoding: [0xf7,0x50,0x00,0x7e]
// SICI: v_sqrt_f64_e32 v[0:1], -4.0             ; encoding: [0xf7,0x68,0x00,0x7e]

v_log_clamp_f32 v1, 0.5
// NOGFX11: :[[@LINE-1]]:1: error: instruction not supported on this GPU (gfx1100): v_log_clamp_f32
// NOGFX12: :[[@LINE-2]]:1: error: instruction not supported on this GPU (gfx1200): v_log_clamp_f32
// NOGFX1250: :[[@LINE-3]]:1: error: instruction not supported on this GPU (gfx1250): v_log_clamp_f32
// NOGFX9: :[[@LINE-4]]:1: error: instruction not supported on this GPU (gfx900): v_log_clamp_f32
// NOVI: :[[@LINE-5]]:1: error: instruction not supported on this GPU (tonga): v_log_clamp_f32
// SICI: v_log_clamp_f32_e32 v1, 0.5             ; encoding: [0xf0,0x4c,0x02,0x7e]

v_trunc_f32 v0, 0.5
// GFX11: v_trunc_f32_e32 v0, 0.5                 ; encoding: [0xf0,0x42,0x00,0x7e]
// GFX12XX: v_trunc_f32_e32 v0, 0.5                 ; encoding: [0xf0,0x42,0x00,0x7e]
// GFX89: v_trunc_f32_e32 v0, 0.5                 ; encoding: [0xf0,0x38,0x00,0x7e]
// SICI: v_trunc_f32_e32 v0, 0.5                 ; encoding: [0xf0,0x42,0x00,0x7e]

v_fract_f64 v[0:1], -1.0
// GFX11: v_fract_f64_e32 v[0:1], -1.0            ; encoding: [0xf3,0x7c,0x00,0x7e]
// GFX12XX: v_fract_f64_e32 v[0:1], -1.0            ; encoding: [0xf3,0x7c,0x00,0x7e]
// GFX89: v_fract_f64_e32 v[0:1], -1.0            ; encoding: [0xf3,0x64,0x00,0x7e]
// SICI: v_fract_f64_e32 v[0:1], -1.0            ; encoding: [0xf3,0x7c,0x00,0x7e]

v_trunc_f32 v0, -1.0
// GFX11: v_trunc_f32_e32 v0, -1.0                ; encoding: [0xf3,0x42,0x00,0x7e]
// GFX12XX: v_trunc_f32_e32 v0, -1.0                ; encoding: [0xf3,0x42,0x00,0x7e]
// GFX89: v_trunc_f32_e32 v0, -1.0                ; encoding: [0xf3,0x38,0x00,0x7e]
// SICI: v_trunc_f32_e32 v0, -1.0                ; encoding: [0xf3,0x42,0x00,0x7e]

v_fract_f64 v[0:1], 4.0
// GFX11: v_fract_f64_e32 v[0:1], 4.0             ; encoding: [0xf6,0x7c,0x00,0x7e]
// GFX12XX: v_fract_f64_e32 v[0:1], 4.0             ; encoding: [0xf6,0x7c,0x00,0x7e]
// GFX89: v_fract_f64_e32 v[0:1], 4.0             ; encoding: [0xf6,0x64,0x00,0x7e]
// SICI: v_fract_f64_e32 v[0:1], 4.0             ; encoding: [0xf6,0x7c,0x00,0x7e]

v_trunc_f32 v0, 4.0
// GFX11: v_trunc_f32_e32 v0, 4.0                 ; encoding: [0xf6,0x42,0x00,0x7e]
// GFX12XX: v_trunc_f32_e32 v0, 4.0                 ; encoding: [0xf6,0x42,0x00,0x7e]
// GFX89: v_trunc_f32_e32 v0, 4.0                 ; encoding: [0xf6,0x38,0x00,0x7e]
// SICI: v_trunc_f32_e32 v0, 4.0                 ; encoding: [0xf6,0x42,0x00,0x7e]

v_fract_f64 v[0:1], 0.0
// GFX11: v_fract_f64_e32 v[0:1], 0               ; encoding: [0x80,0x7c,0x00,0x7e]
// GFX12XX: v_fract_f64_e32 v[0:1], 0               ; encoding: [0x80,0x7c,0x00,0x7e]
// GFX89: v_fract_f64_e32 v[0:1], 0               ; encoding: [0x80,0x64,0x00,0x7e]
// SICI: v_fract_f64_e32 v[0:1], 0               ; encoding: [0x80,0x7c,0x00,0x7e]

v_trunc_f32 v0, 0.0
// GFX11: v_trunc_f32_e32 v0, 0                   ; encoding: [0x80,0x42,0x00,0x7e]
// GFX12XX: v_trunc_f32_e32 v0, 0                   ; encoding: [0x80,0x42,0x00,0x7e]
// GFX89: v_trunc_f32_e32 v0, 0                   ; encoding: [0x80,0x38,0x00,0x7e]
// SICI: v_trunc_f32_e32 v0, 0                   ; encoding: [0x80,0x42,0x00,0x7e]

v_fract_f64 v[0:1], 1.5
// GFX11: v_fract_f64_e32 v[0:1], 0x3ff80000      ; encoding: [0xff,0x7c,0x00,0x7e,0x00,0x00,0xf8,0x3f]
// GFX12XX: v_fract_f64_e32 v[0:1], 0x3ff80000      ; encoding: [0xff,0x7c,0x00,0x7e,0x00,0x00,0xf8,0x3f]
// GFX89: v_fract_f64_e32 v[0:1], 0x3ff80000      ; encoding: [0xff,0x64,0x00,0x7e,0x00,0x00,0xf8,0x3f]
// SICI: v_fract_f64_e32 v[0:1], 0x3ff80000      ; encoding: [0xff,0x7c,0x00,0x7e,0x00,0x00,0xf8,0x3f]

v_trunc_f32 v0, 1.5
// GFX11: v_trunc_f32_e32 v0, 0x3fc00000          ; encoding: [0xff,0x42,0x00,0x7e,0x00,0x00,0xc0,0x3f]
// GFX12XX: v_trunc_f32_e32 v0, 0x3fc00000          ; encoding: [0xff,0x42,0x00,0x7e,0x00,0x00,0xc0,0x3f]
// GFX89: v_trunc_f32_e32 v0, 0x3fc00000          ; encoding: [0xff,0x38,0x00,0x7e,0x00,0x00,0xc0,0x3f]
// SICI: v_trunc_f32_e32 v0, 0x3fc00000          ; encoding: [0xff,0x42,0x00,0x7e,0x00,0x00,0xc0,0x3f]

v_fract_f64 v[0:1], -3.1415
// GFX11: v_fract_f64_e32 v[0:1], 0xc00921ca      ; encoding: [0xff,0x7c,0x00,0x7e,0xca,0x21,0x09,0xc0]
// GFX12: v_fract_f64_e32 v[0:1], 0xc00921ca      ; encoding: [0xff,0x7c,0x00,0x7e,0xca,0x21,0x09,0xc0]
// GFX1250: v_fract_f64_e32 v[0:1], 0xc00921cac083126f ; encoding: [0xfe,0x7c,0x00,0x7e,0x6f,0x12,0x83,0xc0,0xca,0x21,0x09,0xc0]
// GFX89: v_fract_f64_e32 v[0:1], 0xc00921ca      ; encoding: [0xff,0x64,0x00,0x7e,0xca,0x21,0x09,0xc0]
// NOGFX11: :[[@LINE-5]]:1: warning: Can't encode literal as exact 64-bit floating-point operand. Low 32-bits will be set to zero
// NOGFX12: :[[@LINE-6]]:1: warning: Can't encode literal as exact 64-bit floating-point operand. Low 32-bits will be set to zero
// NOGFX89: :[[@LINE-7]]:1: warning: Can't encode literal as exact 64-bit floating-point operand. Low 32-bits will be set to zero
// NOSICI: :[[@LINE-8]]:1: warning: Can't encode literal as exact 64-bit floating-point operand. Low 32-bits will be set to zero
// SICI: v_fract_f64_e32 v[0:1], 0xc00921ca      ; encoding: [0xff,0x7c,0x00,0x7e,0xca,0x21,0x09,0xc0]

v_trunc_f32 v0, -3.1415
// GFX11: v_trunc_f32_e32 v0, 0xc0490e56          ; encoding: [0xff,0x42,0x00,0x7e,0x56,0x0e,0x49,0xc0]
// GFX12XX: v_trunc_f32_e32 v0, 0xc0490e56          ; encoding: [0xff,0x42,0x00,0x7e,0x56,0x0e,0x49,0xc0]
// GFX89: v_trunc_f32_e32 v0, 0xc0490e56          ; encoding: [0xff,0x38,0x00,0x7e,0x56,0x0e,0x49,0xc0]
// SICI: v_trunc_f32_e32 v0, 0xc0490e56          ; encoding: [0xff,0x42,0x00,0x7e,0x56,0x0e,0x49,0xc0]

v_fract_f64 v[0:1], 100000000000000000000000.0
// GFX11: v_fract_f64_e32 v[0:1], 0x44b52d02      ; encoding: [0xff,0x7c,0x00,0x7e,0x02,0x2d,0xb5,0x44]
// GFX12: v_fract_f64_e32 v[0:1], 0x44b52d02      ; encoding: [0xff,0x7c,0x00,0x7e,0x02,0x2d,0xb5,0x44]
// GFX1250: v_fract_f64_e32 v[0:1], 0x44b52d02c7e14af6 ; encoding: [0xfe,0x7c,0x00,0x7e,0xf6,0x4a,0xe1,0xc7,0x02,0x2d,0xb5,0x44]
// GFX89: v_fract_f64_e32 v[0:1], 0x44b52d02      ; encoding: [0xff,0x64,0x00,0x7e,0x02,0x2d,0xb5,0x44]
// NOGFX11: :[[@LINE-5]]:1: warning: Can't encode literal as exact 64-bit floating-point operand. Low 32-bits will be set to zero
// NOGFX12: :[[@LINE-6]]:1: warning: Can't encode literal as exact 64-bit floating-point operand. Low 32-bits will be set to zero
// NOGFX89: :[[@LINE-7]]:1: warning: Can't encode literal as exact 64-bit floating-point operand. Low 32-bits will be set to zero
// NOSICI: :[[@LINE-8]]:1: warning: Can't encode literal as exact 64-bit floating-point operand. Low 32-bits will be set to zero
// SICI: v_fract_f64_e32 v[0:1], 0x44b52d02      ; encoding: [0xff,0x7c,0x00,0x7e,0x02,0x2d,0xb5,0x44]

v_trunc_f32 v0, 100000000000000000000000.0
// GFX11: v_trunc_f32_e32 v0, 0x65a96816          ; encoding: [0xff,0x42,0x00,0x7e,0x16,0x68,0xa9,0x65]
// GFX12XX: v_trunc_f32_e32 v0, 0x65a96816          ; encoding: [0xff,0x42,0x00,0x7e,0x16,0x68,0xa9,0x65]
// GFX89: v_trunc_f32_e32 v0, 0x65a96816          ; encoding: [0xff,0x38,0x00,0x7e,0x16,0x68,0xa9,0x65]
// SICI: v_trunc_f32_e32 v0, 0x65a96816          ; encoding: [0xff,0x42,0x00,0x7e,0x16,0x68,0xa9,0x65]

v_fract_f64 v[0:1], 10000000.0
// GFX11: v_fract_f64_e32 v[0:1], 0x416312d0      ; encoding: [0xff,0x7c,0x00,0x7e,0xd0,0x12,0x63,0x41]
// GFX12XX: v_fract_f64_e32 v[0:1], 0x416312d0      ; encoding: [0xff,0x7c,0x00,0x7e,0xd0,0x12,0x63,0x41]
// GFX89: v_fract_f64_e32 v[0:1], 0x416312d0      ; encoding: [0xff,0x64,0x00,0x7e,0xd0,0x12,0x63,0x41]
// SICI: v_fract_f64_e32 v[0:1], 0x416312d0      ; encoding: [0xff,0x7c,0x00,0x7e,0xd0,0x12,0x63,0x41]

v_trunc_f32 v0, 10000000.0
// GFX11: v_trunc_f32_e32 v0, 0x4b189680          ; encoding: [0xff,0x42,0x00,0x7e,0x80,0x96,0x18,0x4b]
// GFX12XX: v_trunc_f32_e32 v0, 0x4b189680          ; encoding: [0xff,0x42,0x00,0x7e,0x80,0x96,0x18,0x4b]
// GFX89: v_trunc_f32_e32 v0, 0x4b189680          ; encoding: [0xff,0x38,0x00,0x7e,0x80,0x96,0x18,0x4b]
// SICI: v_trunc_f32_e32 v0, 0x4b189680          ; encoding: [0xff,0x42,0x00,0x7e,0x80,0x96,0x18,0x4b]

v_fract_f64 v[0:1], 3.402823e+38
// GFX11: v_fract_f64_e32 v[0:1], 0x47efffff      ; encoding: [0xff,0x7c,0x00,0x7e,0xff,0xff,0xef,0x47]
// GFX12: v_fract_f64_e32 v[0:1], 0x47efffff      ; encoding: [0xff,0x7c,0x00,0x7e,0xff,0xff,0xef,0x47]
// GFX1250: v_fract_f64_e32 v[0:1], 0x47efffff966ad924 ; encoding: [0xfe,0x7c,0x00,0x7e,0x24,0xd9,0x6a,0x96,0xff,0xff,0xef,0x47]
// GFX89: v_fract_f64_e32 v[0:1], 0x47efffff      ; encoding: [0xff,0x64,0x00,0x7e,0xff,0xff,0xef,0x47]
// NOGFX11: :[[@LINE-5]]:1: warning: Can't encode literal as exact 64-bit floating-point operand. Low 32-bits will be set to zero
// NOGFX12: :[[@LINE-6]]:1: warning: Can't encode literal as exact 64-bit floating-point operand. Low 32-bits will be set to zero
// NOGFX89: :[[@LINE-7]]:1: warning: Can't encode literal as exact 64-bit floating-point operand. Low 32-bits will be set to zero
// NOSICI: :[[@LINE-8]]:1: warning: Can't encode literal as exact 64-bit floating-point operand. Low 32-bits will be set to zero
// SICI: v_fract_f64_e32 v[0:1], 0x47efffff      ; encoding: [0xff,0x7c,0x00,0x7e,0xff,0xff,0xef,0x47]

v_trunc_f32 v0, 3.402823e+38
// GFX11: v_trunc_f32_e32 v0, 0x7f7ffffd          ; encoding: [0xff,0x42,0x00,0x7e,0xfd,0xff,0x7f,0x7f]
// GFX12XX: v_trunc_f32_e32 v0, 0x7f7ffffd          ; encoding: [0xff,0x42,0x00,0x7e,0xfd,0xff,0x7f,0x7f]
// GFX89: v_trunc_f32_e32 v0, 0x7f7ffffd          ; encoding: [0xff,0x38,0x00,0x7e,0xfd,0xff,0x7f,0x7f]
// SICI: v_trunc_f32_e32 v0, 0x7f7ffffd          ; encoding: [0xff,0x42,0x00,0x7e,0xfd,0xff,0x7f,0x7f]

v_fract_f64 v[0:1], 2.3509886e-38
// GFX11: v_fract_f64_e32 v[0:1], 0x381fffff      ; encoding: [0xff,0x7c,0x00,0x7e,0xff,0xff,0x1f,0x38]
// GFX12: v_fract_f64_e32 v[0:1], 0x381fffff      ; encoding: [0xff,0x7c,0x00,0x7e,0xff,0xff,0x1f,0x38]
// GFX1250: v_fract_f64_e32 v[0:1], 0x381fffffe8c9d9fb ; encoding: [0xfe,0x7c,0x00,0x7e,0xfb,0xd9,0xc9,0xe8,0xff,0xff,0x1f,0x38]
// GFX89: v_fract_f64_e32 v[0:1], 0x381fffff      ; encoding: [0xff,0x64,0x00,0x7e,0xff,0xff,0x1f,0x38]
// NOGFX11: :[[@LINE-5]]:1: warning: Can't encode literal as exact 64-bit floating-point operand. Low 32-bits will be set to zero
// NOGFX12: :[[@LINE-6]]:1: warning: Can't encode literal as exact 64-bit floating-point operand. Low 32-bits will be set to zero
// NOGFX89: :[[@LINE-7]]:1: warning: Can't encode literal as exact 64-bit floating-point operand. Low 32-bits will be set to zero
// NOSICI: :[[@LINE-8]]:1: warning: Can't encode literal as exact 64-bit floating-point operand. Low 32-bits will be set to zero
// SICI: v_fract_f64_e32 v[0:1], 0x381fffff      ; encoding: [0xff,0x7c,0x00,0x7e,0xff,0xff,0x1f,0x38]

v_trunc_f32 v0, 2.3509886e-38
// GFX11: v_trunc_f32_e32 v0, 0xffffff            ; encoding: [0xff,0x42,0x00,0x7e,0xff,0xff,0xff,0x00]
// GFX12XX: v_trunc_f32_e32 v0, 0xffffff            ; encoding: [0xff,0x42,0x00,0x7e,0xff,0xff,0xff,0x00]
// GFX89: v_trunc_f32_e32 v0, 0xffffff            ; encoding: [0xff,0x38,0x00,0x7e,0xff,0xff,0xff,0x00]
// SICI: v_trunc_f32_e32 v0, 0xffffff            ; encoding: [0xff,0x42,0x00,0x7e,0xff,0xff,0xff,0x00]

v_fract_f64 v[0:1], 2.3509886e-70
// GFX11: v_fract_f64_e32 v[0:1], 0x3179f623      ; encoding: [0xff,0x7c,0x00,0x7e,0x23,0xf6,0x79,0x31]
// GFX12: v_fract_f64_e32 v[0:1], 0x3179f623      ; encoding: [0xff,0x7c,0x00,0x7e,0x23,0xf6,0x79,0x31]
// GFX1250: v_fract_f64_e32 v[0:1], 0x3179f623c2d3cf3c ; encoding: [0xfe,0x7c,0x00,0x7e,0x3c,0xcf,0xd3,0xc2,0x23,0xf6,0x79,0x31]
// GFX89: v_fract_f64_e32 v[0:1], 0x3179f623      ; encoding: [0xff,0x64,0x00,0x7e,0x23,0xf6,0x79,0x31]
// NOGFX11: :[[@LINE-5]]:1: warning: Can't encode literal as exact 64-bit floating-point operand. Low 32-bits will be set to zero
// NOGFX12: :[[@LINE-6]]:1: warning: Can't encode literal as exact 64-bit floating-point operand. Low 32-bits will be set to zero
// NOGFX89: :[[@LINE-7]]:1: warning: Can't encode literal as exact 64-bit floating-point operand. Low 32-bits will be set to zero
// NOSICI: :[[@LINE-8]]:1: warning: Can't encode literal as exact 64-bit floating-point operand. Low 32-bits will be set to zero
// SICI: v_fract_f64_e32 v[0:1], 0x3179f623      ; encoding: [0xff,0x7c,0x00,0x7e,0x23,0xf6,0x79,0x31]

v_trunc_f32 v0, 2.3509886e-70
// NOGCN: :[[@LINE-1]]:17: error: invalid operand for instruction

v_fract_f64_e32 v[0:1], 1.0
// GFX11: v_fract_f64_e32 v[0:1], 1.0             ; encoding: [0xf2,0x7c,0x00,0x7e]
// GFX12XX: v_fract_f64_e32 v[0:1], 1.0             ; encoding: [0xf2,0x7c,0x00,0x7e]
// GFX89: v_fract_f64_e32 v[0:1], 1.0             ; encoding: [0xf2,0x64,0x00,0x7e]
// SICI: v_fract_f64_e32 v[0:1], 1.0             ; encoding: [0xf2,0x7c,0x00,0x7e]

v_fract_f64_e32 v[0:1], lit(1.0)
// GFX11: v_fract_f64_e32 v[0:1], lit(0x3ff00000) ; encoding: [0xff,0x7c,0x00,0x7e,0x00,0x00,0xf0,0x3f]
// GFX12XX: v_fract_f64_e32 v[0:1], lit(0x3ff00000) ; encoding: [0xff,0x7c,0x00,0x7e,0x00,0x00,0xf0,0x3f]
// GFX89: v_fract_f64_e32 v[0:1], lit(0x3ff00000) ; encoding: [0xff,0x64,0x00,0x7e,0x00,0x00,0xf0,0x3f]
// SICI: v_fract_f64_e32 v[0:1], lit(0x3ff00000) ; encoding: [0xff,0x7c,0x00,0x7e,0x00,0x00,0xf0,0x3f]

v_wmma_i32_16x16x16_iu8 v[8:15], v[0:3], v[4:7], 1.0
// GFX11: v_wmma_i32_16x16x16_iu8 v[8:15], v[0:3], v[4:7], 1.0 ; encoding: [0x08,0x40,0x44,0xcc,0x00,0x09,0xca,0x1b]
// NOCI: :[[@LINE-2]]:1: error: instruction not supported on this GPU (bonaire): v_wmma_i32_16x16x16_iu8
// NOGFX12: :[[@LINE-3]]:1: error: operands are not valid for this GPU or mode
// NOGFX1250: :[[@LINE-4]]:1: error: instruction not supported on this GPU (gfx1250): v_wmma_i32_16x16x16_iu8
// NOGFX9: :[[@LINE-5]]:1: error: instruction not supported on this GPU (gfx900): v_wmma_i32_16x16x16_iu8
// NOSI: :[[@LINE-6]]:1: error: instruction not supported on this GPU (tahiti): v_wmma_i32_16x16x16_iu8
// NOVI: :[[@LINE-7]]:1: error: instruction not supported on this GPU (tonga): v_wmma_i32_16x16x16_iu8

v_wmma_i32_16x16x16_iu8 v[8:15], v[0:3], v[4:7], lit(1.0)
// NOCI: :[[@LINE-1]]:1: error: instruction not supported on this GPU (bonaire): v_wmma_i32_16x16x16_iu8
// NOGFX11: :[[@LINE-2]]:54: error: invalid operand for instruction
// NOGFX12: :[[@LINE-3]]:54: error: invalid operand for instruction
// NOGFX1250: :[[@LINE-4]]:1: error: instruction not supported on this GPU (gfx1250): v_wmma_i32_16x16x16_iu8
// NOGFX9: :[[@LINE-5]]:1: error: instruction not supported on this GPU (gfx900): v_wmma_i32_16x16x16_iu8
// NOSI: :[[@LINE-6]]:1: error: instruction not supported on this GPU (tahiti): v_wmma_i32_16x16x16_iu8
// NOVI: :[[@LINE-7]]:1: error: instruction not supported on this GPU (tonga): v_wmma_i32_16x16x16_iu8

v_cos_f16_e32 v5.l, 1.0
// GFX11: v_cos_f16_e32 v5.l, 1.0                 ; encoding: [0xf2,0xc2,0x0a,0x7e]
// GFX12XX: v_cos_f16_e32 v5.l, 1.0                 ; encoding: [0xf2,0xc2,0x0a,0x7e]
// NOCI: :[[@LINE-3]]:1: error: instruction not supported on this GPU (bonaire): v_cos_f16
// NOGFX89: :[[@LINE-4]]:1: error: operands are not valid for this GPU or mode
// NOSI: :[[@LINE-5]]:1: error: instruction not supported on this GPU (tahiti): v_cos_f16

v_cos_f16_e32 v5.l, lit(1.0)
// GFX11: v_cos_f16_e32 v5.l, lit(0x3c00)         ; encoding: [0xff,0xc2,0x0a,0x7e,0x00,0x3c,0x00,0x00]
// GFX12XX: v_cos_f16_e32 v5.l, lit(0x3c00)         ; encoding: [0xff,0xc2,0x0a,0x7e,0x00,0x3c,0x00,0x00]
// NOCI: :[[@LINE-3]]:1: error: instruction not supported on this GPU (bonaire): v_cos_f16
// NOGFX89: :[[@LINE-4]]:1: error: operands are not valid for this GPU or mode
// NOSI: :[[@LINE-5]]:1: error: instruction not supported on this GPU (tahiti): v_cos_f16

v_tanh_bf16 v5.l, 1.0
// GFX1250: v_tanh_bf16_e32 v5.l, 1.0               ; encoding: [0xf2,0x94,0x0a,0x7e]
// NOCI: :[[@LINE-2]]:1: error: instruction not supported on this GPU (bonaire): v_tanh_bf16
// NOGFX11: :[[@LINE-3]]:1: error: instruction not supported on this GPU (gfx1100): v_tanh_bf16
// NOGFX12: :[[@LINE-4]]:1: error: instruction not supported on this GPU (gfx1200): v_tanh_bf16
// NOGFX9: :[[@LINE-5]]:1: error: instruction not supported on this GPU (gfx900): v_tanh_bf16
// NOSI: :[[@LINE-6]]:1: error: instruction not supported on this GPU (tahiti): v_tanh_bf16
// NOVI: :[[@LINE-7]]:1: error: instruction not supported on this GPU (tonga): v_tanh_bf16

v_tanh_bf16 v5.l, lit(1.0)
// GFX1250: v_tanh_bf16_e32 v5.l, lit(0x3f80)       ; encoding: [0xff,0x94,0x0a,0x7e,0x80,0x3f,0x00,0x00]
// NOCI: :[[@LINE-2]]:1: error: instruction not supported on this GPU (bonaire): v_tanh_bf16
// NOGFX11: :[[@LINE-3]]:1: error: instruction not supported on this GPU (gfx1100): v_tanh_bf16
// NOGFX12: :[[@LINE-4]]:1: error: instruction not supported on this GPU (gfx1200): v_tanh_bf16
// NOGFX9: :[[@LINE-5]]:1: error: instruction not supported on this GPU (gfx900): v_tanh_bf16
// NOSI: :[[@LINE-6]]:1: error: instruction not supported on this GPU (tahiti): v_tanh_bf16
// NOVI: :[[@LINE-7]]:1: error: instruction not supported on this GPU (tonga): v_tanh_bf16

v_trunc_f32_e32 v0, 1.0
// GFX11: v_trunc_f32_e32 v0, 1.0                 ; encoding: [0xf2,0x42,0x00,0x7e]
// GFX12XX: v_trunc_f32_e32 v0, 1.0                 ; encoding: [0xf2,0x42,0x00,0x7e]
// GFX89: v_trunc_f32_e32 v0, 1.0                 ; encoding: [0xf2,0x38,0x00,0x7e]
// SICI: v_trunc_f32_e32 v0, 1.0                 ; encoding: [0xf2,0x42,0x00,0x7e]

v_trunc_f32_e32 v0, lit(1.0)
// GFX11: v_trunc_f32_e32 v0, lit(0x3f800000)     ; encoding: [0xff,0x42,0x00,0x7e,0x00,0x00,0x80,0x3f]
// GFX12XX: v_trunc_f32_e32 v0, lit(0x3f800000)     ; encoding: [0xff,0x42,0x00,0x7e,0x00,0x00,0x80,0x3f]
// GFX89: v_trunc_f32_e32 v0, lit(0x3f800000)     ; encoding: [0xff,0x38,0x00,0x7e,0x00,0x00,0x80,0x3f]
// SICI: v_trunc_f32_e32 v0, lit(0x3f800000)     ; encoding: [0xff,0x42,0x00,0x7e,0x00,0x00,0x80,0x3f]

v_dot2_bf16_bf16 v5.l, v1, v2, 1.0
// GFX11: v_dot2_bf16_bf16 v5.l, v1, v2, 1.0      ; encoding: [0x05,0x00,0x67,0xd6,0x01,0x05,0xca,0x03]
// GFX12: v_dot2_bf16_bf16 v5.l, v1, v2, 1.0      ; encoding: [0x05,0x00,0x67,0xd6,0x01,0x05,0xca,0x03]
// NOCI: :[[@LINE-3]]:1: error: instruction not supported on this GPU (bonaire): v_dot2_bf16_bf16
// NOGFX1250: :[[@LINE-4]]:1: error: instruction not supported on this GPU (gfx1250): v_dot2_bf16_bf16
// NOGFX9: :[[@LINE-5]]:1: error: instruction not supported on this GPU (gfx900): v_dot2_bf16_bf16
// NOSI: :[[@LINE-6]]:1: error: instruction not supported on this GPU (tahiti): v_dot2_bf16_bf16
// NOVI: :[[@LINE-7]]:1: error: instruction not supported on this GPU (tonga): v_dot2_bf16_bf16

v_dot2_bf16_bf16 v5.l, v1, v2, lit(1.0)
// GFX11: v_dot2_bf16_bf16 v5.l, v1, v2, lit(0x3f80) ; encoding: [0x05,0x00,0x67,0xd6,0x01,0x05,0xfe,0x03,0x80,0x3f,0x00,0x00]
// GFX12: v_dot2_bf16_bf16 v5.l, v1, v2, lit(0x3f80) ; encoding: [0x05,0x00,0x67,0xd6,0x01,0x05,0xfe,0x03,0x80,0x3f,0x00,0x00]
// NOCI: :[[@LINE-3]]:1: error: instruction not supported on this GPU (bonaire): v_dot2_bf16_bf16
// NOGFX1250: :[[@LINE-4]]:1: error: instruction not supported on this GPU (gfx1250): v_dot2_bf16_bf16
// NOGFX9: :[[@LINE-5]]:1: error: instruction not supported on this GPU (gfx900): v_dot2_bf16_bf16
// NOSI: :[[@LINE-6]]:1: error: instruction not supported on this GPU (tahiti): v_dot2_bf16_bf16
// NOVI: :[[@LINE-7]]:1: error: instruction not supported on this GPU (tonga): v_dot2_bf16_bf16

v_dot2_f32_f16 v5, v1, 1.0, v2
// GFX11: v_dot2_f32_f16 v5, v1, 1.0, v2          ; encoding: [0x05,0x40,0x13,0xcc,0x01,0xe5,0x09,0x1c]
// GFX12: v_dot2_f32_f16 v5, v1, 1.0, v2          ; encoding: [0x05,0x40,0x13,0xcc,0x01,0xe5,0x09,0x1c]
// NOCI: :[[@LINE-3]]:1: error: instruction not supported on this GPU (bonaire): v_dot2_f32_f16
// NOGFX1250: :[[@LINE-4]]:1: error: instruction not supported on this GPU (gfx1250): v_dot2_f32_f16
// NOGFX9: :[[@LINE-5]]:1: error: instruction not supported on this GPU (gfx900): v_dot2_f32_f16
// NOSI: :[[@LINE-6]]:1: error: instruction not supported on this GPU (tahiti): v_dot2_f32_f16
// NOVI: :[[@LINE-7]]:1: error: instruction not supported on this GPU (tonga): v_dot2_f32_f16

v_dot2_f32_f16 v5, v1, lit(1.0), v2
// GFX11: v_dot2_f32_f16 v5, v1, lit(0x3c00), v2  ; encoding: [0x05,0x40,0x13,0xcc,0x01,0xff,0x09,0x1c,0x00,0x3c,0x00,0x00]
// GFX12: v_dot2_f32_f16 v5, v1, lit(0x3c00), v2  ; encoding: [0x05,0x40,0x13,0xcc,0x01,0xff,0x09,0x1c,0x00,0x3c,0x00,0x00]
// NOCI: :[[@LINE-3]]:1: error: instruction not supported on this GPU (bonaire): v_dot2_f32_f16
// NOGFX1250: :[[@LINE-4]]:1: error: instruction not supported on this GPU (gfx1250): v_dot2_f32_f16
// NOGFX9: :[[@LINE-5]]:1: error: instruction not supported on this GPU (gfx900): v_dot2_f32_f16
// NOSI: :[[@LINE-6]]:1: error: instruction not supported on this GPU (tahiti): v_dot2_f32_f16
// NOVI: :[[@LINE-7]]:1: error: instruction not supported on this GPU (tonga): v_dot2_f32_f16

v_cvt_pk_fp8_f16 v1.l, 1.0
// GFX1250: v_cvt_pk_fp8_f16 v1.l, 0x3c00           ; encoding: [0x01,0x00,0x72,0xd7,0xff,0x00,0x01,0x02,0x00,0x3c,0x00,0x00]
// NOCI: :[[@LINE-2]]:1: error: instruction not supported on this GPU (bonaire): v_cvt_pk_fp8_f16
// NOGFX11: :[[@LINE-3]]:1: error: instruction not supported on this GPU (gfx1100): v_cvt_pk_fp8_f16
// NOGFX12: :[[@LINE-4]]:1: error: instruction not supported on this GPU (gfx1200): v_cvt_pk_fp8_f16
// NOGFX9: :[[@LINE-5]]:1: error: instruction not supported on this GPU (gfx900): v_cvt_pk_fp8_f16
// NOSI: :[[@LINE-6]]:1: error: instruction not supported on this GPU (tahiti): v_cvt_pk_fp8_f16
// NOVI: :[[@LINE-7]]:1: error: instruction not supported on this GPU (tonga): v_cvt_pk_fp8_f16

v_cvt_pk_fp8_f16 v1.l, lit(1.0)
// GFX1250-ASM: v_cvt_pk_fp8_f16 v1.l, lit(0x3c00)      ; encoding: [0x01,0x00,0x72,0xd7,0xff,0x00,0x01,0x02,0x00,0x3c,0x00,0x00]
// GFX1250-DIS: v_cvt_pk_fp8_f16 v1.l, 0x3c00           ; encoding: [0x01,0x00,0x72,0xd7,0xff,0x00,0x01,0x02,0x00,0x3c,0x00,0x00]
// NOCI: :[[@LINE-3]]:1: error: instruction not supported on this GPU (bonaire): v_cvt_pk_fp8_f16
// NOGFX11: :[[@LINE-4]]:1: error: instruction not supported on this GPU (gfx1100): v_cvt_pk_fp8_f16
// NOGFX12: :[[@LINE-5]]:1: error: instruction not supported on this GPU (gfx1200): v_cvt_pk_fp8_f16
// NOGFX9: :[[@LINE-6]]:1: error: instruction not supported on this GPU (gfx900): v_cvt_pk_fp8_f16
// NOSI: :[[@LINE-7]]:1: error: instruction not supported on this GPU (tahiti): v_cvt_pk_fp8_f16
// NOVI: :[[@LINE-8]]:1: error: instruction not supported on this GPU (tonga): v_cvt_pk_fp8_f16

//---------------------------------------------------------------------------//
// fp literal, expected int operand
//---------------------------------------------------------------------------//

s_mov_b64_e32 s[0:1], 0.5
// GFX8PLUS: s_mov_b64 s[0:1], 0.5                   ; encoding: [0xf0,0x01,0x80,0xbe]
// SICI: s_mov_b64 s[0:1], 0.5                   ; encoding: [0xf0,0x04,0x80,0xbe]

s_mov_b64 s[0:1], lit(0.5)
// NOGCN: :[[@LINE-1]]:23: error: invalid operand for instruction

v_and_b32_e32 v0, 0.5, v1
// GFX11: v_and_b32_e32 v0, 0.5, v1               ; encoding: [0xf0,0x02,0x00,0x36]
// GFX12XX: v_and_b32_e32 v0, 0.5, v1               ; encoding: [0xf0,0x02,0x00,0x36]
// GFX89: v_and_b32_e32 v0, 0.5, v1               ; encoding: [0xf0,0x02,0x00,0x26]
// SICI: v_and_b32_e32 v0, 0.5, v1               ; encoding: [0xf0,0x02,0x00,0x36]

v_and_b32_e64 v0, 0.5, v1
// GFX11: v_and_b32_e64 v0, 0.5, v1               ; encoding: [0x00,0x00,0x1b,0xd5,0xf0,0x02,0x02,0x02]
// GFX12XX: v_and_b32_e64 v0, 0.5, v1               ; encoding: [0x00,0x00,0x1b,0xd5,0xf0,0x02,0x02,0x02]
// GFX89: v_and_b32_e64 v0, 0.5, v1               ; encoding: [0x00,0x00,0x13,0xd1,0xf0,0x02,0x02,0x00]
// SICI: v_and_b32_e64 v0, 0.5, v1               ; encoding: [0x00,0x00,0x36,0xd2,0xf0,0x02,0x02,0x00]

s_mov_b64_e32 s[0:1], -1.0
// GFX8PLUS: s_mov_b64 s[0:1], -1.0                  ; encoding: [0xf3,0x01,0x80,0xbe]
// SICI: s_mov_b64 s[0:1], -1.0                  ; encoding: [0xf3,0x04,0x80,0xbe]

v_and_b32_e32 v0, -1.0, v1
// GFX11: v_and_b32_e32 v0, -1.0, v1              ; encoding: [0xf3,0x02,0x00,0x36]
// GFX12XX: v_and_b32_e32 v0, -1.0, v1              ; encoding: [0xf3,0x02,0x00,0x36]
// GFX89: v_and_b32_e32 v0, -1.0, v1              ; encoding: [0xf3,0x02,0x00,0x26]
// SICI: v_and_b32_e32 v0, -1.0, v1              ; encoding: [0xf3,0x02,0x00,0x36]

v_and_b32_e64 v0, -1.0, v1
// GFX11: v_and_b32_e64 v0, -1.0, v1              ; encoding: [0x00,0x00,0x1b,0xd5,0xf3,0x02,0x02,0x02]
// GFX12XX: v_and_b32_e64 v0, -1.0, v1              ; encoding: [0x00,0x00,0x1b,0xd5,0xf3,0x02,0x02,0x02]
// GFX89: v_and_b32_e64 v0, -1.0, v1              ; encoding: [0x00,0x00,0x13,0xd1,0xf3,0x02,0x02,0x00]
// SICI: v_and_b32_e64 v0, -1.0, v1              ; encoding: [0x00,0x00,0x36,0xd2,0xf3,0x02,0x02,0x00]

s_mov_b64_e32 s[0:1], 4.0
// GFX8PLUS: s_mov_b64 s[0:1], 4.0                   ; encoding: [0xf6,0x01,0x80,0xbe]
// SICI: s_mov_b64 s[0:1], 4.0                   ; encoding: [0xf6,0x04,0x80,0xbe]

v_and_b32_e32 v0, 4.0, v1
// GFX11: v_and_b32_e32 v0, 4.0, v1               ; encoding: [0xf6,0x02,0x00,0x36]
// GFX12XX: v_and_b32_e32 v0, 4.0, v1               ; encoding: [0xf6,0x02,0x00,0x36]
// GFX89: v_and_b32_e32 v0, 4.0, v1               ; encoding: [0xf6,0x02,0x00,0x26]
// SICI: v_and_b32_e32 v0, 4.0, v1               ; encoding: [0xf6,0x02,0x00,0x36]

v_and_b32_e64 v0, 4.0, v1
// GFX11: v_and_b32_e64 v0, 4.0, v1               ; encoding: [0x00,0x00,0x1b,0xd5,0xf6,0x02,0x02,0x02]
// GFX12XX: v_and_b32_e64 v0, 4.0, v1               ; encoding: [0x00,0x00,0x1b,0xd5,0xf6,0x02,0x02,0x02]
// GFX89: v_and_b32_e64 v0, 4.0, v1               ; encoding: [0x00,0x00,0x13,0xd1,0xf6,0x02,0x02,0x00]
// SICI: v_and_b32_e64 v0, 4.0, v1               ; encoding: [0x00,0x00,0x36,0xd2,0xf6,0x02,0x02,0x00]

s_mov_b64_e32 s[0:1], 0.0
// GFX8PLUS: s_mov_b64 s[0:1], 0                     ; encoding: [0x80,0x01,0x80,0xbe]
// SICI: s_mov_b64 s[0:1], 0                     ; encoding: [0x80,0x04,0x80,0xbe]

v_and_b32_e32 v0, 0.0, v1
// GFX11: v_and_b32_e32 v0, 0, v1                 ; encoding: [0x80,0x02,0x00,0x36]
// GFX12XX: v_and_b32_e32 v0, 0, v1                 ; encoding: [0x80,0x02,0x00,0x36]
// GFX89: v_and_b32_e32 v0, 0, v1                 ; encoding: [0x80,0x02,0x00,0x26]
// SICI: v_and_b32_e32 v0, 0, v1                 ; encoding: [0x80,0x02,0x00,0x36]

v_and_b32_e64 v0, 0.0, v1
// GFX11: v_and_b32_e64 v0, 0, v1                 ; encoding: [0x00,0x00,0x1b,0xd5,0x80,0x02,0x02,0x02]
// GFX12XX: v_and_b32_e64 v0, 0, v1                 ; encoding: [0x00,0x00,0x1b,0xd5,0x80,0x02,0x02,0x02]
// GFX89: v_and_b32_e64 v0, 0, v1                 ; encoding: [0x00,0x00,0x13,0xd1,0x80,0x02,0x02,0x00]
// SICI: v_and_b32_e64 v0, 0, v1                 ; encoding: [0x00,0x00,0x36,0xd2,0x80,0x02,0x02,0x00]

s_mov_b64_e32 s[0:1], 1.5
// NOGCN: :[[@LINE-1]]:23: error: invalid operand for instruction

v_and_b32_e32 v0, 1.5, v1
// GFX11: v_and_b32_e32 v0, 0x3fc00000, v1        ; encoding: [0xff,0x02,0x00,0x36,0x00,0x00,0xc0,0x3f]
// GFX12XX: v_and_b32_e32 v0, 0x3fc00000, v1        ; encoding: [0xff,0x02,0x00,0x36,0x00,0x00,0xc0,0x3f]
// GFX89: v_and_b32_e32 v0, 0x3fc00000, v1        ; encoding: [0xff,0x02,0x00,0x26,0x00,0x00,0xc0,0x3f]
// SICI: v_and_b32_e32 v0, 0x3fc00000, v1        ; encoding: [0xff,0x02,0x00,0x36,0x00,0x00,0xc0,0x3f]

s_mov_b64_e32 s[0:1], -3.1415
// NOGCN: :[[@LINE-1]]:23: error: invalid operand for instruction

v_and_b32_e32 v0, -3.1415, v1
// GFX11: v_and_b32_e32 v0, 0xc0490e56, v1        ; encoding: [0xff,0x02,0x00,0x36,0x56,0x0e,0x49,0xc0]
// GFX12XX: v_and_b32_e32 v0, 0xc0490e56, v1        ; encoding: [0xff,0x02,0x00,0x36,0x56,0x0e,0x49,0xc0]
// GFX89: v_and_b32_e32 v0, 0xc0490e56, v1        ; encoding: [0xff,0x02,0x00,0x26,0x56,0x0e,0x49,0xc0]
// SICI: v_and_b32_e32 v0, 0xc0490e56, v1        ; encoding: [0xff,0x02,0x00,0x36,0x56,0x0e,0x49,0xc0]

s_mov_b64_e32 s[0:1], 100000000000000000000000.0
// NOGCN: :[[@LINE-1]]:23: error: invalid operand for instruction

v_and_b32_e32 v0, 100000000000000000000000.0, v1
// GFX11: v_and_b32_e32 v0, 0x65a96816, v1        ; encoding: [0xff,0x02,0x00,0x36,0x16,0x68,0xa9,0x65]
// GFX12XX: v_and_b32_e32 v0, 0x65a96816, v1        ; encoding: [0xff,0x02,0x00,0x36,0x16,0x68,0xa9,0x65]
// GFX89: v_and_b32_e32 v0, 0x65a96816, v1        ; encoding: [0xff,0x02,0x00,0x26,0x16,0x68,0xa9,0x65]
// SICI: v_and_b32_e32 v0, 0x65a96816, v1        ; encoding: [0xff,0x02,0x00,0x36,0x16,0x68,0xa9,0x65]

s_mov_b64_e32 s[0:1], 10000000.0
// NOGCN: :[[@LINE-1]]:23: error: invalid operand for instruction

v_and_b32_e32 v0, 10000000.0, v1
// GFX11: v_and_b32_e32 v0, 0x4b189680, v1        ; encoding: [0xff,0x02,0x00,0x36,0x80,0x96,0x18,0x4b]
// GFX12XX: v_and_b32_e32 v0, 0x4b189680, v1        ; encoding: [0xff,0x02,0x00,0x36,0x80,0x96,0x18,0x4b]
// GFX89: v_and_b32_e32 v0, 0x4b189680, v1        ; encoding: [0xff,0x02,0x00,0x26,0x80,0x96,0x18,0x4b]
// SICI: v_and_b32_e32 v0, 0x4b189680, v1        ; encoding: [0xff,0x02,0x00,0x36,0x80,0x96,0x18,0x4b]

s_mov_b64_e32 s[0:1], 3.402823e+38
// NOGCN: :[[@LINE-1]]:23: error: invalid operand for instruction

v_and_b32_e32 v0, 3.402823e+38, v1
// GFX11: v_and_b32_e32 v0, 0x7f7ffffd, v1        ; encoding: [0xff,0x02,0x00,0x36,0xfd,0xff,0x7f,0x7f]
// GFX12XX: v_and_b32_e32 v0, 0x7f7ffffd, v1        ; encoding: [0xff,0x02,0x00,0x36,0xfd,0xff,0x7f,0x7f]
// GFX89: v_and_b32_e32 v0, 0x7f7ffffd, v1        ; encoding: [0xff,0x02,0x00,0x26,0xfd,0xff,0x7f,0x7f]
// SICI: v_and_b32_e32 v0, 0x7f7ffffd, v1        ; encoding: [0xff,0x02,0x00,0x36,0xfd,0xff,0x7f,0x7f]

s_mov_b64_e32 s[0:1], 2.3509886e-38
// NOGCN: :[[@LINE-1]]:23: error: invalid operand for instruction

v_and_b32_e32 v0, 2.3509886e-38, v1
// GFX11: v_and_b32_e32 v0, 0xffffff, v1          ; encoding: [0xff,0x02,0x00,0x36,0xff,0xff,0xff,0x00]
// GFX12XX: v_and_b32_e32 v0, 0xffffff, v1          ; encoding: [0xff,0x02,0x00,0x36,0xff,0xff,0xff,0x00]
// GFX89: v_and_b32_e32 v0, 0xffffff, v1          ; encoding: [0xff,0x02,0x00,0x26,0xff,0xff,0xff,0x00]
// SICI: v_and_b32_e32 v0, 0xffffff, v1          ; encoding: [0xff,0x02,0x00,0x36,0xff,0xff,0xff,0x00]

s_mov_b64_e32 s[0:1], 2.3509886e-70
// NOGCN: :[[@LINE-1]]:23: error: invalid operand for instruction

v_and_b32_e32 v0, 2.3509886e-70, v1
// NOGCN: :[[@LINE-1]]:19: error: invalid operand for instruction

v_not_b16 v5.l, 1.0
// GFX11: v_not_b16_e32 v5.l, 1.0                 ; encoding: [0xf2,0xd2,0x0a,0x7e]
// GFX12XX: v_not_b16_e32 v5.l, 1.0                 ; encoding: [0xf2,0xd2,0x0a,0x7e]
// NOCI: :[[@LINE-3]]:1: error: instruction not supported on this GPU (bonaire): v_not_b16
// NOGFX9: :[[@LINE-4]]:1: error: instruction not supported on this GPU (gfx900): v_not_b16
// NOSI: :[[@LINE-5]]:1: error: instruction not supported on this GPU (tahiti): v_not_b16
// NOVI: :[[@LINE-6]]:1: error: instruction not supported on this GPU (tonga): v_not_b16

v_not_b16 v5.l, lit(1.0)
// GFX11: v_not_b16_e32 v5.l, lit(0x3f800000)     ; encoding: [0xff,0xd2,0x0a,0x7e,0x00,0x00,0x80,0x3f]
// GFX12XX: v_not_b16_e32 v5.l, lit(0x3f800000)     ; encoding: [0xff,0xd2,0x0a,0x7e,0x00,0x00,0x80,0x3f]
// NOCI: :[[@LINE-3]]:1: error: instruction not supported on this GPU (bonaire): v_not_b16
// NOGFX9: :[[@LINE-4]]:1: error: instruction not supported on this GPU (gfx900): v_not_b16
// NOSI: :[[@LINE-5]]:1: error: instruction not supported on this GPU (tahiti): v_not_b16
// NOVI: :[[@LINE-6]]:1: error: instruction not supported on this GPU (tonga): v_not_b16

v_and_b32_e32 v0, 1.0, v1
// GFX11: v_and_b32_e32 v0, 1.0, v1               ; encoding: [0xf2,0x02,0x00,0x36]
// GFX12XX: v_and_b32_e32 v0, 1.0, v1               ; encoding: [0xf2,0x02,0x00,0x36]
// GFX89: v_and_b32_e32 v0, 1.0, v1               ; encoding: [0xf2,0x02,0x00,0x26]
// SICI: v_and_b32_e32 v0, 1.0, v1               ; encoding: [0xf2,0x02,0x00,0x36]

v_and_b32_e32 v0, lit(1.0), v1
// GFX11: v_and_b32_e32 v0, lit(0x3f800000), v1   ; encoding: [0xff,0x02,0x00,0x36,0x00,0x00,0x80,0x3f]
// GFX12XX: v_and_b32_e32 v0, lit(0x3f800000), v1   ; encoding: [0xff,0x02,0x00,0x36,0x00,0x00,0x80,0x3f]
// GFX89: v_and_b32_e32 v0, lit(0x3f800000), v1   ; encoding: [0xff,0x02,0x00,0x26,0x00,0x00,0x80,0x3f]
// SICI: v_and_b32_e32 v0, lit(0x3f800000), v1   ; encoding: [0xff,0x02,0x00,0x36,0x00,0x00,0x80,0x3f]

v_pk_add_u16 v5, exec_lo, 1.0
// GFX11: v_pk_add_u16 v5, exec_lo, 1.0           ; encoding: [0x05,0x40,0x0a,0xcc,0x7e,0xe4,0x01,0x1a]
// GFX12XX: v_pk_add_u16 v5, exec_lo, 1.0           ; encoding: [0x05,0x40,0x0a,0xcc,0x7e,0xe4,0x01,0x1a]
// GFX9: v_pk_add_u16 v5, exec_lo, 1.0           ; encoding: [0x05,0x40,0x8a,0xd3,0x7e,0xe4,0x01,0x18]
// NOCI: :[[@LINE-4]]:1: error: instruction not supported on this GPU (bonaire): v_pk_add_u16
// NOSI: :[[@LINE-5]]:1: error: instruction not supported on this GPU (tahiti): v_pk_add_u16
// NOVI: :[[@LINE-6]]:1: error: instruction not supported on this GPU (tonga): v_pk_add_u16

v_pk_add_u16 v5, exec_lo, lit(1.0)
// GFX11: v_pk_add_u16 v5, exec_lo, lit(0x3f800000) ; encoding: [0x05,0x40,0x0a,0xcc,0x7e,0xfe,0x01,0x1a,0x00,0x00,0x80,0x3f]
// GFX12XX: v_pk_add_u16 v5, exec_lo, lit(0x3f800000) ; encoding: [0x05,0x40,0x0a,0xcc,0x7e,0xfe,0x01,0x1a,0x00,0x00,0x80,0x3f]
// NOCI: :[[@LINE-3]]:1: error: instruction not supported on this GPU (bonaire): v_pk_add_u16
// NOGFX9: :[[@LINE-4]]:31: error: literal operands are not supported
// NOSI: :[[@LINE-5]]:1: error: instruction not supported on this GPU (tahiti): v_pk_add_u16
// NOVI: :[[@LINE-6]]:1: error: instruction not supported on this GPU (tonga): v_pk_add_u16

v_perm_pk16_b6_u4 v[2:4], v4, v[4:5], 1.0
// GFX1250: v_perm_pk16_b6_u4 v[2:4], v4, v[4:5], 1.0 ; encoding: [0x02,0x00,0x42,0xd6,0x04,0x09,0xca,0x03]
// NOCI: :[[@LINE-2]]:1: error: instruction not supported on this GPU (bonaire): v_perm_pk16_b6_u4
// NOGFX11: :[[@LINE-3]]:1: error: instruction not supported on this GPU (gfx1100): v_perm_pk16_b6_u4
// NOGFX12: :[[@LINE-4]]:1: error: instruction not supported on this GPU (gfx1200): v_perm_pk16_b6_u4
// NOGFX9: :[[@LINE-5]]:1: error: instruction not supported on this GPU (gfx900): v_perm_pk16_b6_u4
// NOSI: :[[@LINE-6]]:1: error: instruction not supported on this GPU (tahiti): v_perm_pk16_b6_u4
// NOVI: :[[@LINE-7]]:1: error: instruction not supported on this GPU (tonga): v_perm_pk16_b6_u4

v_perm_pk16_b6_u4 v[2:4], v4, v[4:5], lit(1.0)
// GFX1250: v_perm_pk16_b6_u4 v[2:4], v4, v[4:5], lit(0x3f800000) ; encoding: [0x02,0x00,0x42,0xd6,0x04,0x09,0xfe,0x03,0x00,0x00,0x80,0x3f]
// NOCI: :[[@LINE-2]]:1: error: instruction not supported on this GPU (bonaire): v_perm_pk16_b6_u4
// NOGFX11: :[[@LINE-3]]:1: error: instruction not supported on this GPU (gfx1100): v_perm_pk16_b6_u4
// NOGFX12: :[[@LINE-4]]:1: error: instruction not supported on this GPU (gfx1200): v_perm_pk16_b6_u4
// NOGFX9: :[[@LINE-5]]:1: error: instruction not supported on this GPU (gfx900): v_perm_pk16_b6_u4
// NOSI: :[[@LINE-6]]:1: error: instruction not supported on this GPU (tahiti): v_perm_pk16_b6_u4
// NOVI: :[[@LINE-7]]:1: error: instruction not supported on this GPU (tonga): v_perm_pk16_b6_u4

//---------------------------------------------------------------------------//
// int literal, expected fp operand
//---------------------------------------------------------------------------//

v_trunc_f32_e32 v0, 0
// GFX11: v_trunc_f32_e32 v0, 0                   ; encoding: [0x80,0x42,0x00,0x7e]
// GFX12XX: v_trunc_f32_e32 v0, 0                   ; encoding: [0x80,0x42,0x00,0x7e]
// GFX89: v_trunc_f32_e32 v0, 0                   ; encoding: [0x80,0x38,0x00,0x7e]
// SICI: v_trunc_f32_e32 v0, 0                   ; encoding: [0x80,0x42,0x00,0x7e]

v_fract_f64_e32 v[0:1], 1
// GFX11: v_fract_f64_e32 v[0:1], 1               ; encoding: [0x81,0x7c,0x00,0x7e]
// GFX12XX: v_fract_f64_e32 v[0:1], 1               ; encoding: [0x81,0x7c,0x00,0x7e]
// GFX89: v_fract_f64_e32 v[0:1], 1               ; encoding: [0x81,0x64,0x00,0x7e]
// SICI: v_fract_f64_e32 v[0:1], 1               ; encoding: [0x81,0x7c,0x00,0x7e]

v_fract_f64_e32 v[0:1], lit(1)
// GFX11: v_fract_f64_e32 v[0:1], lit(0x1)        ; encoding: [0xff,0x7c,0x00,0x7e,0x01,0x00,0x00,0x00]
// GFX12: v_fract_f64_e32 v[0:1], lit(0x1)        ; encoding: [0xff,0x7c,0x00,0x7e,0x01,0x00,0x00,0x00]
// GFX1250-ASM: v_fract_f64_e32 v[0:1], lit(0x1)        ; encoding: [0xff,0x7c,0x00,0x7e,0x01,0x00,0x00,0x00]
// GFX1250-DIS: v_fract_f64_e32 v[0:1], 0x1             ; encoding: [0xff,0x7c,0x00,0x7e,0x01,0x00,0x00,0x00]
// GFX89: v_fract_f64_e32 v[0:1], lit(0x1)        ; encoding: [0xff,0x64,0x00,0x7e,0x01,0x00,0x00,0x00]
// SICI: v_fract_f64_e32 v[0:1], lit(0x1)        ; encoding: [0xff,0x7c,0x00,0x7e,0x01,0x00,0x00,0x00]

v_trunc_f32_e64 v0, 0
// GFX11: v_trunc_f32_e64 v0, 0                   ; encoding: [0x00,0x00,0xa1,0xd5,0x80,0x00,0x01,0x02]
// GFX12XX: v_trunc_f32_e64 v0, 0                   ; encoding: [0x00,0x00,0xa1,0xd5,0x80,0x00,0x01,0x02]
// GFX89: v_trunc_f32_e64 v0, 0                   ; encoding: [0x00,0x00,0x5c,0xd1,0x80,0x00,0x00,0x00]
// SICI: v_trunc_f32_e64 v0, 0                   ; encoding: [0x00,0x00,0x42,0xd3,0x80,0x00,0x00,0x00]

v_fract_f64_e64 v[0:1], 0
// GFX11: v_fract_f64_e64 v[0:1], 0               ; encoding: [0x00,0x00,0xbe,0xd5,0x80,0x00,0x01,0x02]
// GFX12XX: v_fract_f64_e64 v[0:1], 0               ; encoding: [0x00,0x00,0xbe,0xd5,0x80,0x00,0x01,0x02]
// GFX89: v_fract_f64_e64 v[0:1], 0               ; encoding: [0x00,0x00,0x72,0xd1,0x80,0x00,0x00,0x00]
// SICI: v_fract_f64_e64 v[0:1], 0               ; encoding: [0x00,0x00,0x7c,0xd3,0x80,0x00,0x00,0x00]

v_trunc_f32_e32 v0, -13
// GFX11: v_trunc_f32_e32 v0, -13                 ; encoding: [0xcd,0x42,0x00,0x7e]
// GFX12XX: v_trunc_f32_e32 v0, -13                 ; encoding: [0xcd,0x42,0x00,0x7e]
// GFX89: v_trunc_f32_e32 v0, -13                 ; encoding: [0xcd,0x38,0x00,0x7e]
// SICI: v_trunc_f32_e32 v0, -13                 ; encoding: [0xcd,0x42,0x00,0x7e]

v_fract_f64_e32 v[0:1], -13
// GFX11: v_fract_f64_e32 v[0:1], -13             ; encoding: [0xcd,0x7c,0x00,0x7e]
// GFX12XX: v_fract_f64_e32 v[0:1], -13             ; encoding: [0xcd,0x7c,0x00,0x7e]
// GFX89: v_fract_f64_e32 v[0:1], -13             ; encoding: [0xcd,0x64,0x00,0x7e]
// SICI: v_fract_f64_e32 v[0:1], -13             ; encoding: [0xcd,0x7c,0x00,0x7e]

v_trunc_f32_e64 v0, -13
// GFX11: v_trunc_f32_e64 v0, -13                 ; encoding: [0x00,0x00,0xa1,0xd5,0xcd,0x00,0x01,0x02]
// GFX12XX: v_trunc_f32_e64 v0, -13                 ; encoding: [0x00,0x00,0xa1,0xd5,0xcd,0x00,0x01,0x02]
// GFX89: v_trunc_f32_e64 v0, -13                 ; encoding: [0x00,0x00,0x5c,0xd1,0xcd,0x00,0x00,0x00]
// SICI: v_trunc_f32_e64 v0, -13                 ; encoding: [0x00,0x00,0x42,0xd3,0xcd,0x00,0x00,0x00]

v_fract_f64_e64 v[0:1], -13
// GFX11: v_fract_f64_e64 v[0:1], -13             ; encoding: [0x00,0x00,0xbe,0xd5,0xcd,0x00,0x01,0x02]
// GFX12XX: v_fract_f64_e64 v[0:1], -13             ; encoding: [0x00,0x00,0xbe,0xd5,0xcd,0x00,0x01,0x02]
// GFX89: v_fract_f64_e64 v[0:1], -13             ; encoding: [0x00,0x00,0x72,0xd1,0xcd,0x00,0x00,0x00]
// SICI: v_fract_f64_e64 v[0:1], -13             ; encoding: [0x00,0x00,0x7c,0xd3,0xcd,0x00,0x00,0x00]

v_trunc_f32_e32 v0, 35
// GFX11: v_trunc_f32_e32 v0, 35                  ; encoding: [0xa3,0x42,0x00,0x7e]
// GFX12XX: v_trunc_f32_e32 v0, 35                  ; encoding: [0xa3,0x42,0x00,0x7e]
// GFX89: v_trunc_f32_e32 v0, 35                  ; encoding: [0xa3,0x38,0x00,0x7e]
// SICI: v_trunc_f32_e32 v0, 35                  ; encoding: [0xa3,0x42,0x00,0x7e]

v_fract_f64_e32 v[0:1], 35
// GFX11: v_fract_f64_e32 v[0:1], 35              ; encoding: [0xa3,0x7c,0x00,0x7e]
// GFX12XX: v_fract_f64_e32 v[0:1], 35              ; encoding: [0xa3,0x7c,0x00,0x7e]
// GFX89: v_fract_f64_e32 v[0:1], 35              ; encoding: [0xa3,0x64,0x00,0x7e]
// SICI: v_fract_f64_e32 v[0:1], 35              ; encoding: [0xa3,0x7c,0x00,0x7e]

v_trunc_f32_e64 v0, 35
// GFX11: v_trunc_f32_e64 v0, 35                  ; encoding: [0x00,0x00,0xa1,0xd5,0xa3,0x00,0x01,0x02]
// GFX12XX: v_trunc_f32_e64 v0, 35                  ; encoding: [0x00,0x00,0xa1,0xd5,0xa3,0x00,0x01,0x02]
// GFX89: v_trunc_f32_e64 v0, 35                  ; encoding: [0x00,0x00,0x5c,0xd1,0xa3,0x00,0x00,0x00]
// SICI: v_trunc_f32_e64 v0, 35                  ; encoding: [0x00,0x00,0x42,0xd3,0xa3,0x00,0x00,0x00]

v_fract_f64_e64 v[0:1], 35
// GFX11: v_fract_f64_e64 v[0:1], 35              ; encoding: [0x00,0x00,0xbe,0xd5,0xa3,0x00,0x01,0x02]
// GFX12XX: v_fract_f64_e64 v[0:1], 35              ; encoding: [0x00,0x00,0xbe,0xd5,0xa3,0x00,0x01,0x02]
// GFX89: v_fract_f64_e64 v[0:1], 35              ; encoding: [0x00,0x00,0x72,0xd1,0xa3,0x00,0x00,0x00]
// SICI: v_fract_f64_e64 v[0:1], 35              ; encoding: [0x00,0x00,0x7c,0xd3,0xa3,0x00,0x00,0x00]

v_trunc_f32_e32 v0, 1234
// GFX11: v_trunc_f32_e32 v0, 0x4d2               ; encoding: [0xff,0x42,0x00,0x7e,0xd2,0x04,0x00,0x00]
// GFX12XX: v_trunc_f32_e32 v0, 0x4d2               ; encoding: [0xff,0x42,0x00,0x7e,0xd2,0x04,0x00,0x00]
// GFX89: v_trunc_f32_e32 v0, 0x4d2               ; encoding: [0xff,0x38,0x00,0x7e,0xd2,0x04,0x00,0x00]
// SICI: v_trunc_f32_e32 v0, 0x4d2               ; encoding: [0xff,0x42,0x00,0x7e,0xd2,0x04,0x00,0x00]

v_fract_f64_e32 v[0:1], 1234
// GFX11: v_fract_f64_e32 v[0:1], 0x4d2           ; encoding: [0xff,0x7c,0x00,0x7e,0xd2,0x04,0x00,0x00]
// GFX12XX: v_fract_f64_e32 v[0:1], 0x4d2           ; encoding: [0xff,0x7c,0x00,0x7e,0xd2,0x04,0x00,0x00]
// GFX89: v_fract_f64_e32 v[0:1], 0x4d2           ; encoding: [0xff,0x64,0x00,0x7e,0xd2,0x04,0x00,0x00]
// SICI: v_fract_f64_e32 v[0:1], 0x4d2           ; encoding: [0xff,0x7c,0x00,0x7e,0xd2,0x04,0x00,0x00]

v_trunc_f32_e64 v0, 1234
// GFX11: v_trunc_f32_e64 v0, 0x4d2               ; encoding: [0x00,0x00,0xa1,0xd5,0xff,0x00,0x01,0x02,0xd2,0x04,0x00,0x00]
// GFX12XX: v_trunc_f32_e64 v0, 0x4d2               ; encoding: [0x00,0x00,0xa1,0xd5,0xff,0x00,0x01,0x02,0xd2,0x04,0x00,0x00]
// NOGFX89: :[[@LINE-3]]:21: error: literal operands are not supported
// NOSICI: :[[@LINE-4]]:21: error: literal operands are not supported

v_fract_f64_e64 v[0:1], 1234
// GFX11: v_fract_f64_e64 v[0:1], 0x4d2           ; encoding: [0x00,0x00,0xbe,0xd5,0xff,0x00,0x01,0x02,0xd2,0x04,0x00,0x00]
// GFX12XX: v_fract_f64_e64 v[0:1], 0x4d2           ; encoding: [0x00,0x00,0xbe,0xd5,0xff,0x00,0x01,0x02,0xd2,0x04,0x00,0x00]
// NOGFX89: :[[@LINE-3]]:25: error: literal operands are not supported
// NOSICI: :[[@LINE-4]]:25: error: literal operands are not supported

v_trunc_f32_e32 v0, -54321
// GFX11: v_trunc_f32_e32 v0, 0xffff2bcf          ; encoding: [0xff,0x42,0x00,0x7e,0xcf,0x2b,0xff,0xff]
// GFX12XX: v_trunc_f32_e32 v0, 0xffff2bcf          ; encoding: [0xff,0x42,0x00,0x7e,0xcf,0x2b,0xff,0xff]
// GFX89: v_trunc_f32_e32 v0, 0xffff2bcf          ; encoding: [0xff,0x38,0x00,0x7e,0xcf,0x2b,0xff,0xff]
// SICI: v_trunc_f32_e32 v0, 0xffff2bcf          ; encoding: [0xff,0x42,0x00,0x7e,0xcf,0x2b,0xff,0xff]

v_fract_f64_e32 v[0:1], -54321
// GFX11: v_fract_f64_e32 v[0:1], 0xffff2bcf      ; encoding: [0xff,0x7c,0x00,0x7e,0xcf,0x2b,0xff,0xff]
// GFX12XX: v_fract_f64_e32 v[0:1], 0xffff2bcf      ; encoding: [0xff,0x7c,0x00,0x7e,0xcf,0x2b,0xff,0xff]
// GFX89: v_fract_f64_e32 v[0:1], 0xffff2bcf      ; encoding: [0xff,0x64,0x00,0x7e,0xcf,0x2b,0xff,0xff]
// SICI: v_fract_f64_e32 v[0:1], 0xffff2bcf      ; encoding: [0xff,0x7c,0x00,0x7e,0xcf,0x2b,0xff,0xff]

v_trunc_f32_e32 v0, 0xdeadbeef
// GFX11: v_trunc_f32_e32 v0, 0xdeadbeef          ; encoding: [0xff,0x42,0x00,0x7e,0xef,0xbe,0xad,0xde]
// GFX12XX: v_trunc_f32_e32 v0, 0xdeadbeef          ; encoding: [0xff,0x42,0x00,0x7e,0xef,0xbe,0xad,0xde]
// GFX89: v_trunc_f32_e32 v0, 0xdeadbeef          ; encoding: [0xff,0x38,0x00,0x7e,0xef,0xbe,0xad,0xde]
// SICI: v_trunc_f32_e32 v0, 0xdeadbeef          ; encoding: [0xff,0x42,0x00,0x7e,0xef,0xbe,0xad,0xde]

v_fract_f64_e32 v[0:1], 0xdeadbeef
// GFX11: v_fract_f64_e32 v[0:1], 0xdeadbeef      ; encoding: [0xff,0x7c,0x00,0x7e,0xef,0xbe,0xad,0xde]
// GFX12XX: v_fract_f64_e32 v[0:1], 0xdeadbeef      ; encoding: [0xff,0x7c,0x00,0x7e,0xef,0xbe,0xad,0xde]
// GFX89: v_fract_f64_e32 v[0:1], 0xdeadbeef      ; encoding: [0xff,0x64,0x00,0x7e,0xef,0xbe,0xad,0xde]
// SICI: v_fract_f64_e32 v[0:1], 0xdeadbeef      ; encoding: [0xff,0x7c,0x00,0x7e,0xef,0xbe,0xad,0xde]

v_trunc_f32_e32 v0, 0xffffffff
// GFX11: v_trunc_f32_e32 v0, -1                  ; encoding: [0xc1,0x42,0x00,0x7e]
// GFX12XX: v_trunc_f32_e32 v0, -1                  ; encoding: [0xc1,0x42,0x00,0x7e]
// GFX89: v_trunc_f32_e32 v0, -1                  ; encoding: [0xc1,0x38,0x00,0x7e]
// SICI: v_trunc_f32_e32 v0, -1                  ; encoding: [0xc1,0x42,0x00,0x7e]

v_fract_f64_e32 v[0:1], 0xffffffff
// GFX11: v_fract_f64_e32 v[0:1], 0xffffffff      ; encoding: [0xff,0x7c,0x00,0x7e,0xff,0xff,0xff,0xff]
// GFX12XX: v_fract_f64_e32 v[0:1], 0xffffffff      ; encoding: [0xff,0x7c,0x00,0x7e,0xff,0xff,0xff,0xff]
// GFX89: v_fract_f64_e32 v[0:1], 0xffffffff      ; encoding: [0xff,0x64,0x00,0x7e,0xff,0xff,0xff,0xff]
// SICI: v_fract_f64_e32 v[0:1], 0xffffffff      ; encoding: [0xff,0x7c,0x00,0x7e,0xff,0xff,0xff,0xff]

v_trunc_f32_e32 v0, 0x123456789abcdef0
// NOGCN: :[[@LINE-1]]:21: error: invalid operand for instruction

v_fract_f64_e32 v[0:1], 0x123456789abcdef0
// GFX1250: v_fract_f64_e32 v[0:1], 0x123456789abcdef0 ; encoding: [0xfe,0x7c,0x00,0x7e,0xf0,0xde,0xbc,0x9a,0x78,0x56,0x34,0x12]
// NOGFX11: :[[@LINE-2]]:25: error: invalid operand for instruction
// NOGFX12: :[[@LINE-3]]:25: error: invalid operand for instruction
// NOGFX89: :[[@LINE-4]]:25: error: invalid operand for instruction
// NOSICI: :[[@LINE-5]]:25: error: invalid operand for instruction

v_trunc_f32_e32 v0, 0xffffffffffffffff
// GFX11: v_trunc_f32_e32 v0, -1                  ; encoding: [0xc1,0x42,0x00,0x7e]
// GFX12XX: v_trunc_f32_e32 v0, -1                  ; encoding: [0xc1,0x42,0x00,0x7e]
// GFX89: v_trunc_f32_e32 v0, -1                  ; encoding: [0xc1,0x38,0x00,0x7e]
// SICI: v_trunc_f32_e32 v0, -1                  ; encoding: [0xc1,0x42,0x00,0x7e]

v_fract_f64_e32 v[0:1], 0xffffffffffffffff
// GFX11: v_fract_f64_e32 v[0:1], -1              ; encoding: [0xc1,0x7c,0x00,0x7e]
// GFX12XX: v_fract_f64_e32 v[0:1], -1              ; encoding: [0xc1,0x7c,0x00,0x7e]
// GFX89: v_fract_f64_e32 v[0:1], -1              ; encoding: [0xc1,0x64,0x00,0x7e]
// SICI: v_fract_f64_e32 v[0:1], -1              ; encoding: [0xc1,0x7c,0x00,0x7e]

v_wmma_i32_16x16x16_iu8 v[8:15], v[0:3], v[4:7], 1
// GFX11: v_wmma_i32_16x16x16_iu8 v[8:15], v[0:3], v[4:7], 1 ; encoding: [0x08,0x40,0x44,0xcc,0x00,0x09,0x06,0x1a]
// NOCI: :[[@LINE-2]]:1: error: instruction not supported on this GPU (bonaire): v_wmma_i32_16x16x16_iu8
// NOGFX12: :[[@LINE-3]]:1: error: operands are not valid for this GPU or mode
// NOGFX1250: :[[@LINE-4]]:1: error: instruction not supported on this GPU (gfx1250): v_wmma_i32_16x16x16_iu8
// NOGFX9: :[[@LINE-5]]:1: error: instruction not supported on this GPU (gfx900): v_wmma_i32_16x16x16_iu8
// NOSI: :[[@LINE-6]]:1: error: instruction not supported on this GPU (tahiti): v_wmma_i32_16x16x16_iu8
// NOVI: :[[@LINE-7]]:1: error: instruction not supported on this GPU (tonga): v_wmma_i32_16x16x16_iu8

v_wmma_i32_16x16x16_iu8 v[8:15], v[0:3], v[4:7], lit(1)
// NOCI: :[[@LINE-1]]:1: error: instruction not supported on this GPU (bonaire): v_wmma_i32_16x16x16_iu8
// NOGFX11: :[[@LINE-2]]:54: error: invalid operand for instruction
// NOGFX12: :[[@LINE-3]]:54: error: invalid operand for instruction
// NOGFX1250: :[[@LINE-4]]:1: error: instruction not supported on this GPU (gfx1250): v_wmma_i32_16x16x16_iu8
// NOGFX9: :[[@LINE-5]]:1: error: instruction not supported on this GPU (gfx900): v_wmma_i32_16x16x16_iu8
// NOSI: :[[@LINE-6]]:1: error: instruction not supported on this GPU (tahiti): v_wmma_i32_16x16x16_iu8
// NOVI: :[[@LINE-7]]:1: error: instruction not supported on this GPU (tonga): v_wmma_i32_16x16x16_iu8

v_cos_f16_e32 v5.l, 1
// GFX11: v_cos_f16_e32 v5.l, 1                   ; encoding: [0x81,0xc2,0x0a,0x7e]
// GFX12XX: v_cos_f16_e32 v5.l, 1                   ; encoding: [0x81,0xc2,0x0a,0x7e]
// NOCI: :[[@LINE-3]]:1: error: instruction not supported on this GPU (bonaire): v_cos_f16
// NOGFX89: :[[@LINE-4]]:1: error: operands are not valid for this GPU or mode
// NOSI: :[[@LINE-5]]:1: error: instruction not supported on this GPU (tahiti): v_cos_f16

v_cos_f16_e32 v5.l, lit(1)
// GFX11: v_cos_f16_e32 v5.l, lit(0x1)            ; encoding: [0xff,0xc2,0x0a,0x7e,0x01,0x00,0x00,0x00]
// GFX12XX: v_cos_f16_e32 v5.l, lit(0x1)            ; encoding: [0xff,0xc2,0x0a,0x7e,0x01,0x00,0x00,0x00]
// NOCI: :[[@LINE-3]]:1: error: instruction not supported on this GPU (bonaire): v_cos_f16
// NOGFX89: :[[@LINE-4]]:1: error: operands are not valid for this GPU or mode
// NOSI: :[[@LINE-5]]:1: error: instruction not supported on this GPU (tahiti): v_cos_f16

v_tanh_bf16 v5.l, 1
// GFX1250: v_tanh_bf16_e32 v5.l, 1                 ; encoding: [0x81,0x94,0x0a,0x7e]
// NOCI: :[[@LINE-2]]:1: error: instruction not supported on this GPU (bonaire): v_tanh_bf16
// NOGFX11: :[[@LINE-3]]:1: error: instruction not supported on this GPU (gfx1100): v_tanh_bf16
// NOGFX12: :[[@LINE-4]]:1: error: instruction not supported on this GPU (gfx1200): v_tanh_bf16
// NOGFX9: :[[@LINE-5]]:1: error: instruction not supported on this GPU (gfx900): v_tanh_bf16
// NOSI: :[[@LINE-6]]:1: error: instruction not supported on this GPU (tahiti): v_tanh_bf16
// NOVI: :[[@LINE-7]]:1: error: instruction not supported on this GPU (tonga): v_tanh_bf16

v_tanh_bf16 v5.l, lit(1)
// GFX1250: v_tanh_bf16_e32 v5.l, lit(0x1)          ; encoding: [0xff,0x94,0x0a,0x7e,0x01,0x00,0x00,0x00]
// NOCI: :[[@LINE-2]]:1: error: instruction not supported on this GPU (bonaire): v_tanh_bf16
// NOGFX11: :[[@LINE-3]]:1: error: instruction not supported on this GPU (gfx1100): v_tanh_bf16
// NOGFX12: :[[@LINE-4]]:1: error: instruction not supported on this GPU (gfx1200): v_tanh_bf16
// NOGFX9: :[[@LINE-5]]:1: error: instruction not supported on this GPU (gfx900): v_tanh_bf16
// NOSI: :[[@LINE-6]]:1: error: instruction not supported on this GPU (tahiti): v_tanh_bf16
// NOVI: :[[@LINE-7]]:1: error: instruction not supported on this GPU (tonga): v_tanh_bf16

v_trunc_f32_e32 v0, 1
// GFX11: v_trunc_f32_e32 v0, 1                   ; encoding: [0x81,0x42,0x00,0x7e]
// GFX12XX: v_trunc_f32_e32 v0, 1                   ; encoding: [0x81,0x42,0x00,0x7e]
// GFX89: v_trunc_f32_e32 v0, 1                   ; encoding: [0x81,0x38,0x00,0x7e]
// SICI: v_trunc_f32_e32 v0, 1                   ; encoding: [0x81,0x42,0x00,0x7e]

v_trunc_f32_e32 v0, lit(1)
// GFX11: v_trunc_f32_e32 v0, lit(0x1)            ; encoding: [0xff,0x42,0x00,0x7e,0x01,0x00,0x00,0x00]
// GFX12XX: v_trunc_f32_e32 v0, lit(0x1)            ; encoding: [0xff,0x42,0x00,0x7e,0x01,0x00,0x00,0x00]
// GFX89: v_trunc_f32_e32 v0, lit(0x1)            ; encoding: [0xff,0x38,0x00,0x7e,0x01,0x00,0x00,0x00]
// SICI: v_trunc_f32_e32 v0, lit(0x1)            ; encoding: [0xff,0x42,0x00,0x7e,0x01,0x00,0x00,0x00]

v_dot2_bf16_bf16 v5.l, v1, v2, 1
// GFX11: v_dot2_bf16_bf16 v5.l, v1, v2, 1        ; encoding: [0x05,0x00,0x67,0xd6,0x01,0x05,0x06,0x02]
// GFX12: v_dot2_bf16_bf16 v5.l, v1, v2, 1        ; encoding: [0x05,0x00,0x67,0xd6,0x01,0x05,0x06,0x02]
// NOCI: :[[@LINE-3]]:1: error: instruction not supported on this GPU (bonaire): v_dot2_bf16_bf16
// NOGFX1250: :[[@LINE-4]]:1: error: instruction not supported on this GPU (gfx1250): v_dot2_bf16_bf16
// NOGFX9: :[[@LINE-5]]:1: error: instruction not supported on this GPU (gfx900): v_dot2_bf16_bf16
// NOSI: :[[@LINE-6]]:1: error: instruction not supported on this GPU (tahiti): v_dot2_bf16_bf16
// NOVI: :[[@LINE-7]]:1: error: instruction not supported on this GPU (tonga): v_dot2_bf16_bf16

v_dot2_bf16_bf16 v5.l, v1, v2, lit(1)
// GFX11: v_dot2_bf16_bf16 v5.l, v1, v2, lit(0x1) ; encoding: [0x05,0x00,0x67,0xd6,0x01,0x05,0xfe,0x03,0x01,0x00,0x00,0x00]
// GFX12: v_dot2_bf16_bf16 v5.l, v1, v2, lit(0x1) ; encoding: [0x05,0x00,0x67,0xd6,0x01,0x05,0xfe,0x03,0x01,0x00,0x00,0x00]
// NOCI: :[[@LINE-3]]:1: error: instruction not supported on this GPU (bonaire): v_dot2_bf16_bf16
// NOGFX1250: :[[@LINE-4]]:1: error: instruction not supported on this GPU (gfx1250): v_dot2_bf16_bf16
// NOGFX9: :[[@LINE-5]]:1: error: instruction not supported on this GPU (gfx900): v_dot2_bf16_bf16
// NOSI: :[[@LINE-6]]:1: error: instruction not supported on this GPU (tahiti): v_dot2_bf16_bf16
// NOVI: :[[@LINE-7]]:1: error: instruction not supported on this GPU (tonga): v_dot2_bf16_bf16

v_dot2_f32_f16 v5, v1, 1, v2
// GFX11: v_dot2_f32_f16 v5, v1, 1, v2            ; encoding: [0x05,0x40,0x13,0xcc,0x01,0x03,0x09,0x1c]
// GFX12: v_dot2_f32_f16 v5, v1, 1, v2            ; encoding: [0x05,0x40,0x13,0xcc,0x01,0x03,0x09,0x1c]
// NOCI: :[[@LINE-3]]:1: error: instruction not supported on this GPU (bonaire): v_dot2_f32_f16
// NOGFX1250: :[[@LINE-4]]:1: error: instruction not supported on this GPU (gfx1250): v_dot2_f32_f16
// NOGFX9: :[[@LINE-5]]:1: error: instruction not supported on this GPU (gfx900): v_dot2_f32_f16
// NOSI: :[[@LINE-6]]:1: error: instruction not supported on this GPU (tahiti): v_dot2_f32_f16
// NOVI: :[[@LINE-7]]:1: error: instruction not supported on this GPU (tonga): v_dot2_f32_f16

v_dot2_f32_f16 v5, v1, lit(1), v2
// GFX11: v_dot2_f32_f16 v5, v1, lit(0x1), v2     ; encoding: [0x05,0x40,0x13,0xcc,0x01,0xff,0x09,0x1c,0x01,0x00,0x00,0x00]
// GFX12: v_dot2_f32_f16 v5, v1, lit(0x1), v2     ; encoding: [0x05,0x40,0x13,0xcc,0x01,0xff,0x09,0x1c,0x01,0x00,0x00,0x00]
// NOCI: :[[@LINE-3]]:1: error: instruction not supported on this GPU (bonaire): v_dot2_f32_f16
// NOGFX1250: :[[@LINE-4]]:1: error: instruction not supported on this GPU (gfx1250): v_dot2_f32_f16
// NOGFX9: :[[@LINE-5]]:1: error: instruction not supported on this GPU (gfx900): v_dot2_f32_f16
// NOSI: :[[@LINE-6]]:1: error: instruction not supported on this GPU (tahiti): v_dot2_f32_f16
// NOVI: :[[@LINE-7]]:1: error: instruction not supported on this GPU (tonga): v_dot2_f32_f16

v_cvt_pk_fp8_f16 v1.l, 1
// GFX1250: v_cvt_pk_fp8_f16 v1.l, 1                ; encoding: [0x01,0x00,0x72,0xd7,0xff,0x00,0x01,0x02,0x01,0x00,0x00,0x00]
// NOCI: :[[@LINE-2]]:1: error: instruction not supported on this GPU (bonaire): v_cvt_pk_fp8_f16
// NOGFX11: :[[@LINE-3]]:1: error: instruction not supported on this GPU (gfx1100): v_cvt_pk_fp8_f16
// NOGFX12: :[[@LINE-4]]:1: error: instruction not supported on this GPU (gfx1200): v_cvt_pk_fp8_f16
// NOGFX9: :[[@LINE-5]]:1: error: instruction not supported on this GPU (gfx900): v_cvt_pk_fp8_f16
// NOSI: :[[@LINE-6]]:1: error: instruction not supported on this GPU (tahiti): v_cvt_pk_fp8_f16
// NOVI: :[[@LINE-7]]:1: error: instruction not supported on this GPU (tonga): v_cvt_pk_fp8_f16

v_cvt_pk_fp8_f16 v1.l, lit(1)
// GFX1250-ASM: v_cvt_pk_fp8_f16 v1.l, lit(0x1)         ; encoding: [0x01,0x00,0x72,0xd7,0xff,0x00,0x01,0x02,0x01,0x00,0x00,0x00]
// GFX1250-DIS: v_cvt_pk_fp8_f16 v1.l, 1                ; encoding: [0x01,0x00,0x72,0xd7,0xff,0x00,0x01,0x02,0x01,0x00,0x00,0x00]
// NOCI: :[[@LINE-3]]:1: error: instruction not supported on this GPU (bonaire): v_cvt_pk_fp8_f16
// NOGFX11: :[[@LINE-4]]:1: error: instruction not supported on this GPU (gfx1100): v_cvt_pk_fp8_f16
// NOGFX12: :[[@LINE-5]]:1: error: instruction not supported on this GPU (gfx1200): v_cvt_pk_fp8_f16
// NOGFX9: :[[@LINE-6]]:1: error: instruction not supported on this GPU (gfx900): v_cvt_pk_fp8_f16
// NOSI: :[[@LINE-7]]:1: error: instruction not supported on this GPU (tahiti): v_cvt_pk_fp8_f16
// NOVI: :[[@LINE-8]]:1: error: instruction not supported on this GPU (tonga): v_cvt_pk_fp8_f16

//---------------------------------------------------------------------------//
// int literal, expected int operand
//---------------------------------------------------------------------------//

s_mov_b64_e32 s[0:1], 0
// GFX8PLUS: s_mov_b64 s[0:1], 0                     ; encoding: [0x80,0x01,0x80,0xbe]
// SICI: s_mov_b64 s[0:1], 0                     ; encoding: [0x80,0x04,0x80,0xbe]

v_and_b32_e32 v0, 0, v1
// GFX11: v_and_b32_e32 v0, 0, v1                 ; encoding: [0x80,0x02,0x00,0x36]
// GFX12XX: v_and_b32_e32 v0, 0, v1                 ; encoding: [0x80,0x02,0x00,0x36]
// GFX89: v_and_b32_e32 v0, 0, v1                 ; encoding: [0x80,0x02,0x00,0x26]
// SICI: v_and_b32_e32 v0, 0, v1                 ; encoding: [0x80,0x02,0x00,0x36]

v_and_b32_e64 v0, 0, v1
// GFX11: v_and_b32_e64 v0, 0, v1                 ; encoding: [0x00,0x00,0x1b,0xd5,0x80,0x02,0x02,0x02]
// GFX12XX: v_and_b32_e64 v0, 0, v1                 ; encoding: [0x00,0x00,0x1b,0xd5,0x80,0x02,0x02,0x02]
// GFX89: v_and_b32_e64 v0, 0, v1                 ; encoding: [0x00,0x00,0x13,0xd1,0x80,0x02,0x02,0x00]
// SICI: v_and_b32_e64 v0, 0, v1                 ; encoding: [0x00,0x00,0x36,0xd2,0x80,0x02,0x02,0x00]

s_mov_b64_e32 s[0:1], -13
// GFX8PLUS: s_mov_b64 s[0:1], -13                   ; encoding: [0xcd,0x01,0x80,0xbe]
// SICI: s_mov_b64 s[0:1], -13                   ; encoding: [0xcd,0x04,0x80,0xbe]

v_and_b32_e32 v0, -13, v1
// GFX11: v_and_b32_e32 v0, -13, v1               ; encoding: [0xcd,0x02,0x00,0x36]
// GFX12XX: v_and_b32_e32 v0, -13, v1               ; encoding: [0xcd,0x02,0x00,0x36]
// GFX89: v_and_b32_e32 v0, -13, v1               ; encoding: [0xcd,0x02,0x00,0x26]
// SICI: v_and_b32_e32 v0, -13, v1               ; encoding: [0xcd,0x02,0x00,0x36]

v_and_b32_e64 v0, -13, v1
// GFX11: v_and_b32_e64 v0, -13, v1               ; encoding: [0x00,0x00,0x1b,0xd5,0xcd,0x02,0x02,0x02]
// GFX12XX: v_and_b32_e64 v0, -13, v1               ; encoding: [0x00,0x00,0x1b,0xd5,0xcd,0x02,0x02,0x02]
// GFX89: v_and_b32_e64 v0, -13, v1               ; encoding: [0x00,0x00,0x13,0xd1,0xcd,0x02,0x02,0x00]
// SICI: v_and_b32_e64 v0, -13, v1               ; encoding: [0x00,0x00,0x36,0xd2,0xcd,0x02,0x02,0x00]

s_mov_b64_e32 s[0:1], 35
// GFX8PLUS: s_mov_b64 s[0:1], 35                    ; encoding: [0xa3,0x01,0x80,0xbe]
// SICI: s_mov_b64 s[0:1], 35                    ; encoding: [0xa3,0x04,0x80,0xbe]

v_and_b32_e32 v0, 35, v1
// GFX11: v_and_b32_e32 v0, 35, v1                ; encoding: [0xa3,0x02,0x00,0x36]
// GFX12XX: v_and_b32_e32 v0, 35, v1                ; encoding: [0xa3,0x02,0x00,0x36]
// GFX89: v_and_b32_e32 v0, 35, v1                ; encoding: [0xa3,0x02,0x00,0x26]
// SICI: v_and_b32_e32 v0, 35, v1                ; encoding: [0xa3,0x02,0x00,0x36]

v_and_b32_e64 v0, 35, v1
// GFX11: v_and_b32_e64 v0, 35, v1                ; encoding: [0x00,0x00,0x1b,0xd5,0xa3,0x02,0x02,0x02]
// GFX12XX: v_and_b32_e64 v0, 35, v1                ; encoding: [0x00,0x00,0x1b,0xd5,0xa3,0x02,0x02,0x02]
// GFX89: v_and_b32_e64 v0, 35, v1                ; encoding: [0x00,0x00,0x13,0xd1,0xa3,0x02,0x02,0x00]
// SICI: v_and_b32_e64 v0, 35, v1                ; encoding: [0x00,0x00,0x36,0xd2,0xa3,0x02,0x02,0x00]

s_mov_b64_e32 s[0:1], 1234
// GFX8PLUS: s_mov_b64 s[0:1], 0x4d2                 ; encoding: [0xff,0x01,0x80,0xbe,0xd2,0x04,0x00,0x00]
// SICI: s_mov_b64 s[0:1], 0x4d2                 ; encoding: [0xff,0x04,0x80,0xbe,0xd2,0x04,0x00,0x00]

v_and_b32_e32 v0, 1234, v1
// GFX11: v_and_b32_e32 v0, 0x4d2, v1             ; encoding: [0xff,0x02,0x00,0x36,0xd2,0x04,0x00,0x00]
// GFX12XX: v_and_b32_e32 v0, 0x4d2, v1             ; encoding: [0xff,0x02,0x00,0x36,0xd2,0x04,0x00,0x00]
// GFX89: v_and_b32_e32 v0, 0x4d2, v1             ; encoding: [0xff,0x02,0x00,0x26,0xd2,0x04,0x00,0x00]
// SICI: v_and_b32_e32 v0, 0x4d2, v1             ; encoding: [0xff,0x02,0x00,0x36,0xd2,0x04,0x00,0x00]

v_and_b32_e64 v0, 1234, v1
// GFX11: v_and_b32_e64 v0, 0x4d2, v1             ; encoding: [0x00,0x00,0x1b,0xd5,0xff,0x02,0x02,0x02,0xd2,0x04,0x00,0x00]
// GFX12XX: v_and_b32_e64 v0, 0x4d2, v1             ; encoding: [0x00,0x00,0x1b,0xd5,0xff,0x02,0x02,0x02,0xd2,0x04,0x00,0x00]
// NOGFX89: :[[@LINE-3]]:19: error: literal operands are not supported
// NOSICI: :[[@LINE-4]]:19: error: literal operands are not supported

s_mov_b64_e32 s[0:1], -54321
// GFX11: s_mov_b64 s[0:1], 0xffff2bcf            ; encoding: [0xff,0x01,0x80,0xbe,0xcf,0x2b,0xff,0xff]
// GFX12: s_mov_b64 s[0:1], 0xffff2bcf            ; encoding: [0xff,0x01,0x80,0xbe,0xcf,0x2b,0xff,0xff]
// GFX1250: s_mov_b64 s[0:1], 0xffffffffffff2bcf    ; encoding: [0xfe,0x01,0x80,0xbe,0xcf,0x2b,0xff,0xff,0xff,0xff,0xff,0xff]
// GFX89: s_mov_b64 s[0:1], 0xffff2bcf            ; encoding: [0xff,0x01,0x80,0xbe,0xcf,0x2b,0xff,0xff]
// SICI: s_mov_b64 s[0:1], 0xffff2bcf            ; encoding: [0xff,0x04,0x80,0xbe,0xcf,0x2b,0xff,0xff]

v_and_b32_e32 v0, -54321, v1
// GFX11: v_and_b32_e32 v0, 0xffff2bcf, v1        ; encoding: [0xff,0x02,0x00,0x36,0xcf,0x2b,0xff,0xff]
// GFX12XX: v_and_b32_e32 v0, 0xffff2bcf, v1        ; encoding: [0xff,0x02,0x00,0x36,0xcf,0x2b,0xff,0xff]
// GFX89: v_and_b32_e32 v0, 0xffff2bcf, v1        ; encoding: [0xff,0x02,0x00,0x26,0xcf,0x2b,0xff,0xff]
// SICI: v_and_b32_e32 v0, 0xffff2bcf, v1        ; encoding: [0xff,0x02,0x00,0x36,0xcf,0x2b,0xff,0xff]

s_mov_b64_e32 s[0:1], 0xdeadbeef
// GFX11: s_mov_b64 s[0:1], 0xdeadbeef            ; encoding: [0xff,0x01,0x80,0xbe,0xef,0xbe,0xad,0xde]
// GFX12: s_mov_b64 s[0:1], 0xdeadbeef            ; encoding: [0xff,0x01,0x80,0xbe,0xef,0xbe,0xad,0xde]
// GFX1250-ASM: s_mov_b64 s[0:1], 0xdeadbeef            ; encoding: [0xfe,0x01,0x80,0xbe,0xef,0xbe,0xad,0xde,0x00,0x00,0x00,0x00]
// GFX1250-DIS: s_mov_b64 s[0:1], lit64(0xdeadbeef)     ; encoding: [0xfe,0x01,0x80,0xbe,0xef,0xbe,0xad,0xde,0x00,0x00,0x00,0x00]
// GFX89: s_mov_b64 s[0:1], 0xdeadbeef            ; encoding: [0xff,0x01,0x80,0xbe,0xef,0xbe,0xad,0xde]
// SICI: s_mov_b64 s[0:1], 0xdeadbeef            ; encoding: [0xff,0x04,0x80,0xbe,0xef,0xbe,0xad,0xde]

v_and_b32_e32 v0, 0xdeadbeef, v1
// GFX11: v_and_b32_e32 v0, 0xdeadbeef, v1        ; encoding: [0xff,0x02,0x00,0x36,0xef,0xbe,0xad,0xde]
// GFX12XX: v_and_b32_e32 v0, 0xdeadbeef, v1        ; encoding: [0xff,0x02,0x00,0x36,0xef,0xbe,0xad,0xde]
// GFX89: v_and_b32_e32 v0, 0xdeadbeef, v1        ; encoding: [0xff,0x02,0x00,0x26,0xef,0xbe,0xad,0xde]
// SICI: v_and_b32_e32 v0, 0xdeadbeef, v1        ; encoding: [0xff,0x02,0x00,0x36,0xef,0xbe,0xad,0xde]

s_mov_b64_e32 s[0:1], 0xffffffff
// GFX11: s_mov_b64 s[0:1], 0xffffffff            ; encoding: [0xff,0x01,0x80,0xbe,0xff,0xff,0xff,0xff]
// GFX12: s_mov_b64 s[0:1], 0xffffffff            ; encoding: [0xff,0x01,0x80,0xbe,0xff,0xff,0xff,0xff]
// GFX1250-ASM: s_mov_b64 s[0:1], 0xffffffff            ; encoding: [0xfe,0x01,0x80,0xbe,0xff,0xff,0xff,0xff,0x00,0x00,0x00,0x00]
// GFX1250-DIS: s_mov_b64 s[0:1], lit64(0xffffffff)     ; encoding: [0xfe,0x01,0x80,0xbe,0xff,0xff,0xff,0xff,0x00,0x00,0x00,0x00]
// GFX89: s_mov_b64 s[0:1], 0xffffffff            ; encoding: [0xff,0x01,0x80,0xbe,0xff,0xff,0xff,0xff]
// SICI: s_mov_b64 s[0:1], 0xffffffff            ; encoding: [0xff,0x04,0x80,0xbe,0xff,0xff,0xff,0xff]

v_and_b32_e32 v0, 0xffffffff, v1
// GFX11: v_and_b32_e32 v0, -1, v1                ; encoding: [0xc1,0x02,0x00,0x36]
// GFX12XX: v_and_b32_e32 v0, -1, v1                ; encoding: [0xc1,0x02,0x00,0x36]
// GFX89: v_and_b32_e32 v0, -1, v1                ; encoding: [0xc1,0x02,0x00,0x26]
// SICI: v_and_b32_e32 v0, -1, v1                ; encoding: [0xc1,0x02,0x00,0x36]

s_mov_b64_e32 s[0:1], 0x123456789abcdef0
// GFX1250: s_mov_b64 s[0:1], 0x123456789abcdef0    ; encoding: [0xfe,0x01,0x80,0xbe,0xf0,0xde,0xbc,0x9a,0x78,0x56,0x34,0x12]
// NOGFX11: :[[@LINE-2]]:23: error: invalid operand for instruction
// NOGFX12: :[[@LINE-3]]:23: error: invalid operand for instruction
// NOGFX89: :[[@LINE-4]]:23: error: invalid operand for instruction
// NOSICI: :[[@LINE-5]]:23: error: invalid operand for instruction

v_and_b32_e32 v0, 0x123456789abcdef0, v1
// NOGCN: :[[@LINE-1]]:19: error: invalid operand for instruction

s_mov_b64_e32 s[0:1], 0xffffffffffffffff
// GFX8PLUS: s_mov_b64 s[0:1], -1                    ; encoding: [0xc1,0x01,0x80,0xbe]
// SICI: s_mov_b64 s[0:1], -1                    ; encoding: [0xc1,0x04,0x80,0xbe]

v_and_b32_e32 v0, 0xffffffffffffffff, v1
// GFX11: v_and_b32_e32 v0, -1, v1                ; encoding: [0xc1,0x02,0x00,0x36]
// GFX12XX: v_and_b32_e32 v0, -1, v1                ; encoding: [0xc1,0x02,0x00,0x36]
// GFX89: v_and_b32_e32 v0, -1, v1                ; encoding: [0xc1,0x02,0x00,0x26]
// SICI: v_and_b32_e32 v0, -1, v1                ; encoding: [0xc1,0x02,0x00,0x36]

v_not_b16 v5.l, 1
// GFX11: v_not_b16_e32 v5.l, 1                   ; encoding: [0x81,0xd2,0x0a,0x7e]
// GFX12XX: v_not_b16_e32 v5.l, 1                   ; encoding: [0x81,0xd2,0x0a,0x7e]
// NOCI: :[[@LINE-3]]:1: error: instruction not supported on this GPU (bonaire): v_not_b16
// NOGFX9: :[[@LINE-4]]:1: error: instruction not supported on this GPU (gfx900): v_not_b16
// NOSI: :[[@LINE-5]]:1: error: instruction not supported on this GPU (tahiti): v_not_b16
// NOVI: :[[@LINE-6]]:1: error: instruction not supported on this GPU (tonga): v_not_b16

v_not_b16 v5.l, lit(1)
// GFX11: v_not_b16_e32 v5.l, lit(0x1)            ; encoding: [0xff,0xd2,0x0a,0x7e,0x01,0x00,0x00,0x00]
// GFX12XX: v_not_b16_e32 v5.l, lit(0x1)            ; encoding: [0xff,0xd2,0x0a,0x7e,0x01,0x00,0x00,0x00]
// NOCI: :[[@LINE-3]]:1: error: instruction not supported on this GPU (bonaire): v_not_b16
// NOGFX9: :[[@LINE-4]]:1: error: instruction not supported on this GPU (gfx900): v_not_b16
// NOSI: :[[@LINE-5]]:1: error: instruction not supported on this GPU (tahiti): v_not_b16
// NOVI: :[[@LINE-6]]:1: error: instruction not supported on this GPU (tonga): v_not_b16

s_mov_b64 s[0:1], 1
// GFX8PLUS: s_mov_b64 s[0:1], 1                     ; encoding: [0x81,0x01,0x80,0xbe]
// SICI: s_mov_b64 s[0:1], 1                     ; encoding: [0x81,0x04,0x80,0xbe]

s_mov_b64 s[0:1], lit(1)
// GFX8PLUS: s_mov_b64 s[0:1], lit(0x1)              ; encoding: [0xff,0x01,0x80,0xbe,0x01,0x00,0x00,0x00]
// SICI: s_mov_b64 s[0:1], lit(0x1)              ; encoding: [0xff,0x04,0x80,0xbe,0x01,0x00,0x00,0x00]

v_and_b32_e32 v0, 1, v1
// GFX11: v_and_b32_e32 v0, 1, v1                 ; encoding: [0x81,0x02,0x00,0x36]
// GFX12XX: v_and_b32_e32 v0, 1, v1                 ; encoding: [0x81,0x02,0x00,0x36]
// GFX89: v_and_b32_e32 v0, 1, v1                 ; encoding: [0x81,0x02,0x00,0x26]
// SICI: v_and_b32_e32 v0, 1, v1                 ; encoding: [0x81,0x02,0x00,0x36]

v_and_b32_e32 v0, lit(1), v1
// GFX11: v_and_b32_e32 v0, lit(0x1), v1          ; encoding: [0xff,0x02,0x00,0x36,0x01,0x00,0x00,0x00]
// GFX12XX: v_and_b32_e32 v0, lit(0x1), v1          ; encoding: [0xff,0x02,0x00,0x36,0x01,0x00,0x00,0x00]
// GFX89: v_and_b32_e32 v0, lit(0x1), v1          ; encoding: [0xff,0x02,0x00,0x26,0x01,0x00,0x00,0x00]
// SICI: v_and_b32_e32 v0, lit(0x1), v1          ; encoding: [0xff,0x02,0x00,0x36,0x01,0x00,0x00,0x00]

v_pk_add_u16 v5, exec_lo, 1
// GFX11: v_pk_add_u16 v5, exec_lo, 1             ; encoding: [0x05,0x40,0x0a,0xcc,0x7e,0x02,0x01,0x1a]
// GFX12XX: v_pk_add_u16 v5, exec_lo, 1             ; encoding: [0x05,0x40,0x0a,0xcc,0x7e,0x02,0x01,0x1a]
// GFX9: v_pk_add_u16 v5, exec_lo, 1             ; encoding: [0x05,0x40,0x8a,0xd3,0x7e,0x02,0x01,0x18]
// NOCI: :[[@LINE-4]]:1: error: instruction not supported on this GPU (bonaire): v_pk_add_u16
// NOSI: :[[@LINE-5]]:1: error: instruction not supported on this GPU (tahiti): v_pk_add_u16
// NOVI: :[[@LINE-6]]:1: error: instruction not supported on this GPU (tonga): v_pk_add_u16

v_pk_add_u16 v5, exec_lo, lit(1)
// GFX11: v_pk_add_u16 v5, exec_lo, lit(0x1)      ; encoding: [0x05,0x40,0x0a,0xcc,0x7e,0xfe,0x01,0x1a,0x01,0x00,0x00,0x00]
// GFX12XX: v_pk_add_u16 v5, exec_lo, lit(0x1)      ; encoding: [0x05,0x40,0x0a,0xcc,0x7e,0xfe,0x01,0x1a,0x01,0x00,0x00,0x00]
// NOCI: :[[@LINE-3]]:1: error: instruction not supported on this GPU (bonaire): v_pk_add_u16
// NOGFX9: :[[@LINE-4]]:31: error: literal operands are not supported
// NOSI: :[[@LINE-5]]:1: error: instruction not supported on this GPU (tahiti): v_pk_add_u16
// NOVI: :[[@LINE-6]]:1: error: instruction not supported on this GPU (tonga): v_pk_add_u16

v_perm_pk16_b6_u4 v[2:4], v4, v[4:5], 1
// GFX1250: v_perm_pk16_b6_u4 v[2:4], v4, v[4:5], 1 ; encoding: [0x02,0x00,0x42,0xd6,0x04,0x09,0x06,0x02]
// NOCI: :[[@LINE-2]]:1: error: instruction not supported on this GPU (bonaire): v_perm_pk16_b6_u4
// NOGFX11: :[[@LINE-3]]:1: error: instruction not supported on this GPU (gfx1100): v_perm_pk16_b6_u4
// NOGFX12: :[[@LINE-4]]:1: error: instruction not supported on this GPU (gfx1200): v_perm_pk16_b6_u4
// NOGFX9: :[[@LINE-5]]:1: error: instruction not supported on this GPU (gfx900): v_perm_pk16_b6_u4
// NOSI: :[[@LINE-6]]:1: error: instruction not supported on this GPU (tahiti): v_perm_pk16_b6_u4
// NOVI: :[[@LINE-7]]:1: error: instruction not supported on this GPU (tonga): v_perm_pk16_b6_u4

v_perm_pk16_b6_u4 v[2:4], v4, v[4:5], lit(1)
// GFX1250: v_perm_pk16_b6_u4 v[2:4], v4, v[4:5], lit(0x1) ; encoding: [0x02,0x00,0x42,0xd6,0x04,0x09,0xfe,0x03,0x01,0x00,0x00,0x00]
// NOCI: :[[@LINE-2]]:1: error: instruction not supported on this GPU (bonaire): v_perm_pk16_b6_u4
// NOGFX11: :[[@LINE-3]]:1: error: instruction not supported on this GPU (gfx1100): v_perm_pk16_b6_u4
// NOGFX12: :[[@LINE-4]]:1: error: instruction not supported on this GPU (gfx1200): v_perm_pk16_b6_u4
// NOGFX9: :[[@LINE-5]]:1: error: instruction not supported on this GPU (gfx900): v_perm_pk16_b6_u4
// NOSI: :[[@LINE-6]]:1: error: instruction not supported on this GPU (tahiti): v_perm_pk16_b6_u4
// NOVI: :[[@LINE-7]]:1: error: instruction not supported on this GPU (tonga): v_perm_pk16_b6_u4

//---------------------------------------------------------------------------//
// 1/(2*PI)
//---------------------------------------------------------------------------//

v_trunc_f32_e32 v0, 0x3fc45f306dc9c882
// NOGCN: :[[@LINE-1]]:21: error: invalid operand for instruction

v_fract_f64_e32 v[0:1], 0x3fc45f306dc9c882
// GFX11: v_fract_f64_e32 v[0:1], 0.15915494309189532 ; encoding: [0xf8,0x7c,0x00,0x7e]
// GFX12XX: v_fract_f64_e32 v[0:1], 0.15915494309189532 ; encoding: [0xf8,0x7c,0x00,0x7e]
// GFX89: v_fract_f64_e32 v[0:1], 0.15915494309189532 ; encoding: [0xf8,0x64,0x00,0x7e]
// NOSICI: :[[@LINE-4]]:25: error: invalid operand for instruction

v_trunc_f32_e32 v0, 0x3e22f983
// GFX11: v_trunc_f32_e32 v0, 0.15915494          ; encoding: [0xf8,0x42,0x00,0x7e]
// GFX12XX: v_trunc_f32_e32 v0, 0.15915494          ; encoding: [0xf8,0x42,0x00,0x7e]
// GFX89: v_trunc_f32_e32 v0, 0.15915494          ; encoding: [0xf8,0x38,0x00,0x7e]
// SICI: v_trunc_f32_e32 v0, 0x3e22f983          ; encoding: [0xff,0x42,0x00,0x7e,0x83,0xf9,0x22,0x3e]

v_fract_f64_e32 v[0:1], 0x3e22f983
// GFX11: v_fract_f64_e32 v[0:1], 0x3e22f983      ; encoding: [0xff,0x7c,0x00,0x7e,0x83,0xf9,0x22,0x3e]
// GFX12XX: v_fract_f64_e32 v[0:1], 0x3e22f983      ; encoding: [0xff,0x7c,0x00,0x7e,0x83,0xf9,0x22,0x3e]
// GFX89: v_fract_f64_e32 v[0:1], 0x3e22f983      ; encoding: [0xff,0x64,0x00,0x7e,0x83,0xf9,0x22,0x3e]
// SICI: v_fract_f64_e32 v[0:1], 0x3e22f983      ; encoding: [0xff,0x7c,0x00,0x7e,0x83,0xf9,0x22,0x3e]

v_trunc_f32_e64 v0, 0x3fc45f306dc9c882
// NOGCN: :[[@LINE-1]]:21: error: invalid operand for instruction

v_fract_f64_e64 v[0:1], 0x3fc45f306dc9c882
// GFX11: v_fract_f64_e64 v[0:1], 0.15915494309189532 ; encoding: [0x00,0x00,0xbe,0xd5,0xf8,0x00,0x01,0x02]
// GFX12XX: v_fract_f64_e64 v[0:1], 0.15915494309189532 ; encoding: [0x00,0x00,0xbe,0xd5,0xf8,0x00,0x01,0x02]
// GFX89: v_fract_f64_e64 v[0:1], 0.15915494309189532 ; encoding: [0x00,0x00,0x72,0xd1,0xf8,0x00,0x00,0x00]
// NOSICI: :[[@LINE-4]]:25: error: invalid operand for instruction

v_trunc_f32_e64 v0, 0x3e22f983
// GFX11: v_trunc_f32_e64 v0, 0.15915494          ; encoding: [0x00,0x00,0xa1,0xd5,0xf8,0x00,0x01,0x02]
// GFX12XX: v_trunc_f32_e64 v0, 0.15915494          ; encoding: [0x00,0x00,0xa1,0xd5,0xf8,0x00,0x01,0x02]
// GFX89: v_trunc_f32_e64 v0, 0.15915494          ; encoding: [0x00,0x00,0x5c,0xd1,0xf8,0x00,0x00,0x00]
// NOSICI: :[[@LINE-4]]:21: error: literal operands are not supported

v_fract_f64_e64 v[0:1], 0x3e22f983
// GFX11: v_fract_f64_e64 v[0:1], 0x3e22f983      ; encoding: [0x00,0x00,0xbe,0xd5,0xff,0x00,0x01,0x02,0x83,0xf9,0x22,0x3e]
// GFX12XX: v_fract_f64_e64 v[0:1], 0x3e22f983      ; encoding: [0x00,0x00,0xbe,0xd5,0xff,0x00,0x01,0x02,0x83,0xf9,0x22,0x3e]
// NOGFX89: :[[@LINE-3]]:25: error: literal operands are not supported
// NOSICI: :[[@LINE-4]]:25: error: literal operands are not supported

s_mov_b64_e32 s[0:1], 0.159154943091895317852646485335
// GFX8PLUS: s_mov_b64 s[0:1], 0.15915494309189532   ; encoding: [0xf8,0x01,0x80,0xbe]
// NOSICI: :[[@LINE-2]]:23: error: invalid operand for instruction

v_and_b32_e32 v0, 0.159154943091895317852646485335, v1
// GFX11: v_and_b32_e32 v0, 0.15915494, v1        ; encoding: [0xf8,0x02,0x00,0x36]
// GFX12XX: v_and_b32_e32 v0, 0.15915494, v1        ; encoding: [0xf8,0x02,0x00,0x36]
// GFX89: v_and_b32_e32 v0, 0.15915494, v1        ; encoding: [0xf8,0x02,0x00,0x26]
// SICI: v_and_b32_e32 v0, 0x3e22f983, v1        ; encoding: [0xff,0x02,0x00,0x36,0x83,0xf9,0x22,0x3e]

v_and_b32_e64 v0, 0.159154943091895317852646485335, v1
// GFX11: v_and_b32_e64 v0, 0.15915494, v1        ; encoding: [0x00,0x00,0x1b,0xd5,0xf8,0x02,0x02,0x02]
// GFX12XX: v_and_b32_e64 v0, 0.15915494, v1        ; encoding: [0x00,0x00,0x1b,0xd5,0xf8,0x02,0x02,0x02]
// GFX89: v_and_b32_e64 v0, 0.15915494, v1        ; encoding: [0x00,0x00,0x13,0xd1,0xf8,0x02,0x02,0x00]
// NOSICI: :[[@LINE-4]]:19: error: literal operands are not supported

v_fract_f64 v[0:1], 0.159154943091895317852646485335
// GFX11: v_fract_f64_e32 v[0:1], 0.15915494309189532 ; encoding: [0xf8,0x7c,0x00,0x7e]
// GFX12XX: v_fract_f64_e32 v[0:1], 0.15915494309189532 ; encoding: [0xf8,0x7c,0x00,0x7e]
// GFX89: v_fract_f64_e32 v[0:1], 0.15915494309189532 ; encoding: [0xf8,0x64,0x00,0x7e]
// NOSICI: :[[@LINE-4]]:1: warning: Can't encode literal as exact 64-bit floating-point operand. Low 32-bits will be set to zero
// SICI: v_fract_f64_e32 v[0:1], 0x3fc45f30      ; encoding: [0xff,0x7c,0x00,0x7e,0x30,0x5f,0xc4,0x3f]

v_trunc_f32 v0, 0.159154943091895317852646485335
// GFX11: v_trunc_f32_e32 v0, 0.15915494          ; encoding: [0xf8,0x42,0x00,0x7e]
// GFX12XX: v_trunc_f32_e32 v0, 0.15915494          ; encoding: [0xf8,0x42,0x00,0x7e]
// GFX89: v_trunc_f32_e32 v0, 0.15915494          ; encoding: [0xf8,0x38,0x00,0x7e]
// SICI: v_trunc_f32_e32 v0, 0x3e22f983          ; encoding: [0xff,0x42,0x00,0x7e,0x83,0xf9,0x22,0x3e]

v_trunc_f32 v0, lit(0.159154943091895317852646485335)
// GFX11: v_trunc_f32_e32 v0, lit(0x3e22f983)     ; encoding: [0xff,0x42,0x00,0x7e,0x83,0xf9,0x22,0x3e]
// GFX12XX: v_trunc_f32_e32 v0, lit(0x3e22f983)     ; encoding: [0xff,0x42,0x00,0x7e,0x83,0xf9,0x22,0x3e]
// GFX89: v_trunc_f32_e32 v0, lit(0x3e22f983)     ; encoding: [0xff,0x38,0x00,0x7e,0x83,0xf9,0x22,0x3e]
// SICI: v_trunc_f32_e32 v0, lit(0x3e22f983)     ; encoding: [0xff,0x42,0x00,0x7e,0x83,0xf9,0x22,0x3e]

//---------------------------------------------------------------------------//
// integer literal truncation checks
//---------------------------------------------------------------------------//

s_mov_b32 s0, 0x101ffffffff
// NOGCN: :[[@LINE-1]]:15: error: invalid operand for instruction

s_mov_b32 s0, 0x1000000001
// NOGCN: :[[@LINE-1]]:15: error: invalid operand for instruction
	;; [unrolled: 3-line block ×3, first 2 shown]

v_trunc_f32 v0, 0x1fffffffff0
// NOGCN: :[[@LINE-1]]:17: error: invalid operand for instruction

v_trunc_f32 v0, 0x100000001
// NOGCN: :[[@LINE-1]]:17: error: invalid operand for instruction
	;; [unrolled: 3-line block ×3, first 2 shown]

s_mov_b64 s[0:1], 0x101ffffffff
// GFX1250: s_mov_b64 s[0:1], 0x101ffffffff         ; encoding: [0xfe,0x01,0x80,0xbe,0xff,0xff,0xff,0xff,0x01,0x01,0x00,0x00]
// NOGFX11: :[[@LINE-2]]:19: error: invalid operand for instruction
// NOGFX12: :[[@LINE-3]]:19: error: invalid operand for instruction
// NOGFX89: :[[@LINE-4]]:19: error: invalid operand for instruction
// NOSICI: :[[@LINE-5]]:19: error: invalid operand for instruction

s_mov_b64 s[0:1], 0x1000000001
// GFX1250: s_mov_b64 s[0:1], 0x1000000001          ; encoding: [0xfe,0x01,0x80,0xbe,0x01,0x00,0x00,0x00,0x10,0x00,0x00,0x00]
// NOGFX11: :[[@LINE-2]]:19: error: invalid operand for instruction
// NOGFX12: :[[@LINE-3]]:19: error: invalid operand for instruction
// NOGFX89: :[[@LINE-4]]:19: error: invalid operand for instruction
// NOSICI: :[[@LINE-5]]:19: error: invalid operand for instruction

s_mov_b64 s[0:1], 0x1000000fff
// GFX1250: s_mov_b64 s[0:1], 0x1000000fff          ; encoding: [0xfe,0x01,0x80,0xbe,0xff,0x0f,0x00,0x00,0x10,0x00,0x00,0x00]
// NOGFX11: :[[@LINE-2]]:19: error: invalid operand for instruction
// NOGFX12: :[[@LINE-3]]:19: error: invalid operand for instruction
// NOGFX89: :[[@LINE-4]]:19: error: invalid operand for instruction
// NOSICI: :[[@LINE-5]]:19: error: invalid operand for instruction

v_trunc_f64 v[0:1], 0x1fffffffff0
// GFX1250: v_trunc_f64_e32 v[0:1], 0x1fffffffff0   ; encoding: [0xfe,0x2e,0x00,0x7e,0xf0,0xff,0xff,0xff,0xff,0x01,0x00,0x00]
// NOCI: :[[@LINE-2]]:21: error: invalid operand for instruction
// NOGFX11: :[[@LINE-3]]:21: error: invalid operand for instruction
// NOGFX12: :[[@LINE-4]]:21: error: invalid operand for instruction
// NOGFX89: :[[@LINE-5]]:21: error: invalid operand for instruction
// NOSI: :[[@LINE-6]]:1: error: instruction not supported on this GPU (tahiti): v_trunc_f64
// NOCIVI: :[[@LINE-4]]:21: error: invalid operand for instruction

v_trunc_f64 v[0:1], 0x100000001
// GFX1250: v_trunc_f64_e32 v[0:1], 0x100000001     ; encoding: [0xfe,0x2e,0x00,0x7e,0x01,0x00,0x00,0x00,0x01,0x00,0x00,0x00]
// NOCI: :[[@LINE-2]]:21: error: invalid operand for instruction
// NOGFX11: :[[@LINE-3]]:21: error: invalid operand for instruction
// NOGFX12: :[[@LINE-4]]:21: error: invalid operand for instruction
// NOGFX89: :[[@LINE-5]]:21: error: invalid operand for instruction
// NOSI: :[[@LINE-6]]:1: error: instruction not supported on this GPU (tahiti): v_trunc_f64
// NOCIVI: :[[@LINE-4]]:21: error: invalid operand for instruction

v_trunc_f64 v[0:1], 0x1fffffff000
// GFX1250: v_trunc_f64_e32 v[0:1], 0x1fffffff000   ; encoding: [0xfe,0x2e,0x00,0x7e,0x00,0xf0,0xff,0xff,0xff,0x01,0x00,0x00]
// NOCI: :[[@LINE-2]]:21: error: invalid operand for instruction
// NOGFX11: :[[@LINE-3]]:21: error: invalid operand for instruction
// NOGFX12: :[[@LINE-4]]:21: error: invalid operand for instruction
// NOGFX89: :[[@LINE-5]]:21: error: invalid operand for instruction
// NOSI: :[[@LINE-6]]:1: error: instruction not supported on this GPU (tahiti): v_trunc_f64
// NOCIVI: :[[@LINE-4]]:21: error: invalid operand for instruction

//---------------------------------------------------------------------------//
// named inline values: scc, vccz, execz
//---------------------------------------------------------------------------//

buffer_atomic_add v0, off, s[0:3], scc offset:4095
// GFX11: buffer_atomic_add_u32 v0, off, s[0:3], src_scc offset:4095 ; encoding: [0xff,0x0f,0xd4,0xe0,0x00,0x00,0x00,0xfd]
// GFX12: buffer_atomic_add_u32 v0, off, s[0:3], src_scc offset:4095 ; encoding: [0x7d,0x40,0x0d,0xc4,0x00,0x00,0x80,0x00,0x00,0xff,0x0f,0x00]
// GFX1250-ASM: buffer_atomic_add_u32 v0, off, s[0:3], src_scc offset:4095 ; encoding: [0x7d,0x40,0x0d,0xc4,0x00,0x00,0x80,0x00,0x00,0xff,0x0f,0x00]
// GFX1250-DIS: buffer_atomic_add_u32 v0, off, s[0:3], m0 offset:4095 ; encoding: [0x7d,0x40,0x0d,0xc4,0x00,0x00,0x80,0x00,0x00,0xff,0x0f,0x00]
// GFX89: buffer_atomic_add v0, off, s[0:3], src_scc offset:4095 ; encoding: [0xff,0x0f,0x08,0xe1,0x00,0x00,0x00,0xfd]
// SICI: buffer_atomic_add v0, off, s[0:3], src_scc offset:4095 ; encoding: [0xff,0x0f,0xc8,0xe0,0x00,0x00,0x00,0xfd]

s_add_i32 s0, vccz, s0
// GFX89: s_add_i32 s0, src_vccz, s0              ; encoding: [0xfb,0x00,0x00,0x81]
// NOGFX11: :[[@LINE-2]]:15: error: src_vccz register not available on this GPU
// NOGFX12: :[[@LINE-3]]:15: error: src_vccz register not available on this GPU
// NOGFX1250: :[[@LINE-4]]:15: error: src_vccz register not available on this GPU
// SICI: s_add_i32 s0, src_vccz, s0              ; encoding: [0xfb,0x00,0x00,0x81]

s_add_i32 s0, execz, s0
// GFX89: s_add_i32 s0, src_execz, s0             ; encoding: [0xfc,0x00,0x00,0x81]
// NOGFX11: :[[@LINE-2]]:15: error: src_execz register not available on this GPU
// NOGFX12: :[[@LINE-3]]:15: error: src_execz register not available on this GPU
// NOGFX1250: :[[@LINE-4]]:15: error: src_execz register not available on this GPU
// SICI: s_add_i32 s0, src_execz, s0             ; encoding: [0xfc,0x00,0x00,0x81]

s_add_i32 s0, scc, s0
// GFX11: s_add_i32 s0, src_scc, s0               ; encoding: [0xfd,0x00,0x00,0x81]
// GFX12XX: s_add_co_i32 s0, src_scc, s0            ; encoding: [0xfd,0x00,0x00,0x81]
// GFX89: s_add_i32 s0, src_scc, s0               ; encoding: [0xfd,0x00,0x00,0x81]
// SICI: s_add_i32 s0, src_scc, s0               ; encoding: [0xfd,0x00,0x00,0x81]

s_and_b64 s[0:1], s[0:1], src_vccz
// GFX89: s_and_b64 s[0:1], s[0:1], src_vccz      ; encoding: [0x00,0xfb,0x80,0x86]
// NOGFX11: :[[@LINE-2]]:27: error: src_vccz register not available on this GPU
// NOGFX12: :[[@LINE-3]]:27: error: src_vccz register not available on this GPU
// NOGFX1250: :[[@LINE-4]]:27: error: src_vccz register not available on this GPU
// SICI: s_and_b64 s[0:1], s[0:1], src_vccz      ; encoding: [0x00,0xfb,0x80,0x87]

s_and_b64 s[0:1], s[0:1], src_execz
// GFX89: s_and_b64 s[0:1], s[0:1], src_execz     ; encoding: [0x00,0xfc,0x80,0x86]
// NOGFX11: :[[@LINE-2]]:27: error: src_execz register not available on this GPU
// NOGFX12: :[[@LINE-3]]:27: error: src_execz register not available on this GPU
// NOGFX1250: :[[@LINE-4]]:27: error: src_execz register not available on this GPU
// SICI: s_and_b64 s[0:1], s[0:1], src_execz     ; encoding: [0x00,0xfc,0x80,0x87]

s_and_b64 s[0:1], s[0:1], src_scc
// GFX11: s_and_b64 s[0:1], s[0:1], src_scc       ; encoding: [0x00,0xfd,0x80,0x8b]
// GFX12XX: s_and_b64 s[0:1], s[0:1], src_scc       ; encoding: [0x00,0xfd,0x80,0x8b]
// GFX89: s_and_b64 s[0:1], s[0:1], src_scc       ; encoding: [0x00,0xfd,0x80,0x86]
// SICI: s_and_b64 s[0:1], s[0:1], src_scc       ; encoding: [0x00,0xfd,0x80,0x87]

v_add_u16 v0, vccz, v0
// GFX89: v_add_u16_e32 v0, src_vccz, v0          ; encoding: [0xfb,0x00,0x00,0x4c]
// NOCI: :[[@LINE-2]]:1: error: instruction not supported on this GPU (bonaire): v_add_u16
// NOGFX11: :[[@LINE-3]]:1: error: instruction not supported on this GPU (gfx1100): v_add_u16
// NOGFX12: :[[@LINE-4]]:1: error: instruction not supported on this GPU (gfx1200): v_add_u16
// NOGFX1250: :[[@LINE-5]]:1: error: instruction not supported on this GPU (gfx1250): v_add_u16
// NOSI: :[[@LINE-6]]:1: error: instruction not supported on this GPU (tahiti): v_add_u16
// NOSICIVI: :[[@LINE-2]]:1: error: instruction not supported on this GPU

v_add_u16_sdwa v0, scc, v0 dst_sel:DWORD dst_unused:UNUSED_PAD src0_sel:DWORD src1_sel:DWORD
// GFX9: v_add_u16_sdwa v0, src_scc, v0 dst_sel:DWORD dst_unused:UNUSED_PAD src0_sel:DWORD src1_sel:DWORD ; encoding: [0xf9,0x00,0x00,0x4c,0xfd,0x06,0x86,0x06]
// NOCI: :[[@LINE-2]]:1: error: instruction not supported on this GPU (bonaire): v_add_u16
// NOGFX11: :[[@LINE-3]]:1: error: instruction not supported on this GPU (gfx1100): v_add_u16
// NOGFX12: :[[@LINE-4]]:1: error: instruction not supported on this GPU (gfx1200): v_add_u16
// NOGFX1250: :[[@LINE-5]]:1: error: instruction not supported on this GPU (gfx1250): v_add_u16
// NOSI: :[[@LINE-6]]:1: error: instruction not supported on this GPU (tahiti): v_add_u16
// NOVI: :[[@LINE-7]]:20: error: invalid operand for instruction
// NOSICIVI: :[[@LINE-1]]:1: error: instruction not supported on this GPU

v_add_u16_sdwa v0, v0, scc dst_sel:DWORD dst_unused:UNUSED_PAD src0_sel:DWORD src1_sel:DWORD
// GFX9: v_add_u16_sdwa v0, v0, src_scc dst_sel:DWORD dst_unused:UNUSED_PAD src0_sel:DWORD src1_sel:DWORD ; encoding: [0xf9,0xfa,0x01,0x4c,0x00,0x06,0x06,0x86]
// NOCI: :[[@LINE-2]]:1: error: instruction not supported on this GPU (bonaire): v_add_u16
// NOGFX11: :[[@LINE-3]]:1: error: instruction not supported on this GPU (gfx1100): v_add_u16
// NOGFX12: :[[@LINE-4]]:1: error: instruction not supported on this GPU (gfx1200): v_add_u16
// NOGFX1250: :[[@LINE-5]]:1: error: instruction not supported on this GPU (gfx1250): v_add_u16
// NOSI: :[[@LINE-6]]:1: error: instruction not supported on this GPU (tahiti): v_add_u16
// NOVI: :[[@LINE-7]]:24: error: invalid operand for instruction
// NOSICIVI: :[[@LINE-1]]:1: error: instruction not supported on this GPU

v_add_u32 v0, execz, v0
// GFX9: v_add_u32_e32 v0, src_execz, v0         ; encoding: [0xfc,0x00,0x00,0x68]
// NOCI: :[[@LINE-2]]:1: error: instruction not supported on this GPU (bonaire): v_add_u32
// NOGFX11: :[[@LINE-3]]:15: error: src_execz register not available on this GPU
// NOGFX12: :[[@LINE-4]]:15: error: src_execz register not available on this GPU
// NOGFX1250: :[[@LINE-5]]:15: error: src_execz register not available on this GPU
// NOSI: :[[@LINE-6]]:1: error: instruction not supported on this GPU (tahiti): v_add_u32
// NOVI: :[[@LINE-7]]:1: error: operands are not valid for this GPU or mode
// NOSICIVI: :[[@LINE-1]]:1: error: instruction not supported on this GPU

v_add_u32_e64 v0, scc, v0
// GFX11: v_add_nc_u32_e64 v0, src_scc, v0        ; encoding: [0x00,0x00,0x25,0xd5,0xfd,0x00,0x02,0x02]
// GFX12XX: v_add_nc_u32_e64 v0, src_scc, v0        ; encoding: [0x00,0x00,0x25,0xd5,0xfd,0x00,0x02,0x02]
// GFX9: v_add_u32_e64 v0, src_scc, v0           ; encoding: [0x00,0x00,0x34,0xd1,0xfd,0x00,0x02,0x00]
// NOCI: :[[@LINE-4]]:1: error: instruction not supported on this GPU (bonaire): v_add_u32
// NOSI: :[[@LINE-5]]:1: error: instruction not supported on this GPU (tahiti): v_add_u32
// NOVI: :[[@LINE-6]]:1: error: operands are not valid for this GPU or mode
// NOSICIVI: :[[@LINE-1]]:1: error: instruction not supported on this GPU

v_cmp_eq_i64 vcc, scc, v[0:1]
// GFX89: v_cmp_eq_i64_e32 vcc, src_scc, v[0:1]   ; encoding: [0xfd,0x00,0xc4,0x7d]
// NOGFX11: :[[@LINE-2]]:1: error: operands are not valid for this GPU or mode
// NOGFX12: :[[@LINE-3]]:1: error: operands are not valid for this GPU or mode
// NOGFX1250: :[[@LINE-4]]:1: error: operands are not valid for this GPU or mode
// SICI: v_cmp_eq_i64_e32 vcc, src_scc, v[0:1]   ; encoding: [0xfd,0x00,0x44,0x7d]

v_max_f16 v0, execz, v0
// GFX89: v_max_f16_e32 v0, src_execz, v0         ; encoding: [0xfc,0x00,0x00,0x5a]
// NOCI: :[[@LINE-2]]:1: error: instruction not supported on this GPU (bonaire): v_max_f16
// NOGFX11: :[[@LINE-3]]:15: error: src_execz register not available on this GPU
// NOGFX12: :[[@LINE-4]]:15: error: src_execz register not available on this GPU
// NOGFX1250: :[[@LINE-5]]:15: error: src_execz register not available on this GPU
// NOSI: :[[@LINE-6]]:1: error: instruction not supported on this GPU (tahiti): v_max_f16
// NOSICIVI: :[[@LINE-2]]:1: error: instruction not supported on this GPU

v_max_f32 v0, vccz, v0
// GFX89: v_max_f32_e32 v0, src_vccz, v0          ; encoding: [0xfb,0x00,0x00,0x16]
// NOGFX11: :[[@LINE-2]]:15: error: src_vccz register not available on this GPU
// NOGFX12: :[[@LINE-3]]:15: error: src_vccz register not available on this GPU
// NOGFX1250: :[[@LINE-4]]:15: error: src_vccz register not available on this GPU
// SICI: v_max_f32_e32 v0, src_vccz, v0          ; encoding: [0xfb,0x00,0x00,0x20]

v_max_f64 v[0:1], scc, v[0:1]
// GFX11: v_max_f64 v[0:1], src_scc, v[0:1]       ; encoding: [0x00,0x00,0x2a,0xd7,0xfd,0x00,0x02,0x02]
// GFX12XX: v_max_num_f64_e32 v[0:1], src_scc, v[0:1] ; encoding: [0xfd,0x00,0x00,0x1c]
// GFX89: v_max_f64 v[0:1], src_scc, v[0:1]       ; encoding: [0x00,0x00,0x83,0xd2,0xfd,0x00,0x02,0x00]
// SICI: v_max_f64 v[0:1], src_scc, v[0:1]       ; encoding: [0x00,0x00,0xce,0xd2,0xfd,0x00,0x02,0x00]

v_pk_add_f16 v0, execz, v0
// GFX9: v_pk_add_f16 v0, src_execz, v0          ; encoding: [0x00,0x40,0x8f,0xd3,0xfc,0x00,0x02,0x18]
// NOCI: :[[@LINE-2]]:1: error: instruction not supported on this GPU (bonaire): v_pk_add_f16
// NOGFX11: :[[@LINE-3]]:18: error: src_execz register not available on this GPU
// NOGFX12: :[[@LINE-4]]:18: error: src_execz register not available on this GPU
// NOGFX1250: :[[@LINE-5]]:18: error: src_execz register not available on this GPU
// NOSI: :[[@LINE-6]]:1: error: instruction not supported on this GPU (tahiti): v_pk_add_f16
// NOVI: :[[@LINE-7]]:1: error: instruction not supported on this GPU (tonga): v_pk_add_f16
// NOSICIVI: :[[@LINE-1]]:1: error: instruction not supported on this GPU

v_ceil_f16 v0, neg(vccz)
// GFX89: v_ceil_f16_e64 v0, -src_vccz            ; encoding: [0x00,0x00,0x85,0xd1,0xfb,0x00,0x00,0x20]
// NOCI: :[[@LINE-2]]:1: error: instruction not supported on this GPU (bonaire): v_ceil_f16
// NOGFX11: :[[@LINE-3]]:20: error: src_vccz register not available on this GPU
// NOGFX12: :[[@LINE-4]]:20: error: src_vccz register not available on this GPU
// NOGFX1250: :[[@LINE-5]]:20: error: src_vccz register not available on this GPU
// NOSI: :[[@LINE-6]]:1: error: instruction not supported on this GPU (tahiti): v_ceil_f16
// NOSICIVI: :[[@LINE-2]]:1: error: instruction not supported on this GPU

v_ceil_f16 v0, abs(scc)
// GFX89: v_ceil_f16_e64 v0, |src_scc|            ; encoding: [0x00,0x01,0x85,0xd1,0xfd,0x00,0x00,0x00]
// NOCI: :[[@LINE-2]]:1: error: instruction not supported on this GPU (bonaire): v_ceil_f16
// NOGFX11: :[[@LINE-3]]:1: error: operands are not valid for this GPU or mode
// NOGFX12: :[[@LINE-4]]:1: error: operands are not valid for this GPU or mode
// NOGFX1250: :[[@LINE-5]]:1: error: operands are not valid for this GPU or mode
// NOSI: :[[@LINE-6]]:1: error: instruction not supported on this GPU (tahiti): v_ceil_f16
// NOSICIVI: :[[@LINE-2]]:1: error: instruction not supported on this GPU

v_ceil_f16 v0.l, abs(scc)
// GFX11: v_ceil_f16_e64 v0.l, |src_scc|          ; encoding: [0x00,0x01,0xdc,0xd5,0xfd,0x00,0x01,0x02]
// GFX12XX: v_ceil_f16_e64 v0.l, |src_scc|          ; encoding: [0x00,0x01,0xdc,0xd5,0xfd,0x00,0x01,0x02]
// NOCI: :[[@LINE-3]]:1: error: instruction not supported on this GPU (bonaire): v_ceil_f16
// NOGFX89: :[[@LINE-4]]:1: error: operands are not valid for this GPU or mode
// NOSI: :[[@LINE-5]]:1: error: instruction not supported on this GPU (tahiti): v_ceil_f16

v_ceil_f64 v[5:6], |execz|
// CI: v_ceil_f64_e64 v[5:6], |src_execz|      ; encoding: [0x05,0x01,0x30,0xd3,0xfc,0x00,0x00,0x00]
// GFX89: v_ceil_f64_e64 v[5:6], |src_execz|      ; encoding: [0x05,0x01,0x58,0xd1,0xfc,0x00,0x00,0x00]
// NOGFX11: :[[@LINE-3]]:21: error: src_execz register not available on this GPU
// NOGFX12: :[[@LINE-4]]:21: error: src_execz register not available on this GPU
// NOGFX1250: :[[@LINE-5]]:21: error: src_execz register not available on this GPU
// NOSI: :[[@LINE-6]]:1: error: instruction not supported on this GPU (tahiti): v_ceil_f64

v_ceil_f64 v[5:6], -vcc
// CI: v_ceil_f64_e64 v[5:6], -vcc             ; encoding: [0x05,0x00,0x30,0xd3,0x6a,0x00,0x00,0x20]
// GFX11: v_ceil_f64_e64 v[5:6], -vcc             ; encoding: [0x05,0x00,0x98,0xd5,0x6a,0x00,0x01,0x22]
// GFX12: v_ceil_f64_e64 v[5:6], -vcc             ; encoding: [0x05,0x00,0x98,0xd5,0x6a,0x00,0x01,0x22]
// GFX89: v_ceil_f64_e64 v[5:6], -vcc             ; encoding: [0x05,0x00,0x58,0xd1,0x6a,0x00,0x00,0x20]
// NOGFX1250: :[[@LINE-5]]:12: error: invalid operand for instruction
// NOSI: :[[@LINE-6]]:1: error: instruction not supported on this GPU (tahiti): v_ceil_f64

v_ceil_f32 v0, -vccz
// GFX89: v_ceil_f32_e64 v0, -src_vccz            ; encoding: [0x00,0x00,0x5d,0xd1,0xfb,0x00,0x00,0x20]
// NOGFX11: :[[@LINE-2]]:17: error: src_vccz register not available on this GPU
// NOGFX12: :[[@LINE-3]]:17: error: src_vccz register not available on this GPU
// NOGFX1250: :[[@LINE-4]]:17: error: src_vccz register not available on this GPU
// SICI: v_ceil_f32_e64 v0, -src_vccz            ; encoding: [0x00,0x00,0x44,0xd3,0xfb,0x00,0x00,0x20]

v_ceil_f32 v0, |execz|
// GFX89: v_ceil_f32_e64 v0, |src_execz|          ; encoding: [0x00,0x01,0x5d,0xd1,0xfc,0x00,0x00,0x00]
// NOGFX11: :[[@LINE-2]]:17: error: src_execz register not available on this GPU
// NOGFX12: :[[@LINE-3]]:17: error: src_execz register not available on this GPU
// NOGFX1250: :[[@LINE-4]]:17: error: src_execz register not available on this GPU
// SICI: v_ceil_f32_e64 v0, |src_execz|          ; encoding: [0x00,0x01,0x44,0xd3,0xfc,0x00,0x00,0x00]

v_ceil_f16_sdwa v5, |vccz| dst_sel:DWORD dst_unused:UNUSED_PRESERVE
// GFX9: v_ceil_f16_sdwa v5, |src_vccz| dst_sel:DWORD dst_unused:UNUSED_PRESERVE src0_sel:DWORD ; encoding: [0xf9,0x8a,0x0a,0x7e,0xfb,0x16,0xa6,0x00]
// NOCI: :[[@LINE-2]]:1: error: instruction not supported on this GPU (bonaire): v_ceil_f16
// NOGFX11: :[[@LINE-3]]:1: error: sdwa variant of this instruction is not supported
// NOGFX12: :[[@LINE-4]]:1: error: sdwa variant of this instruction is not supported
// NOGFX1250: :[[@LINE-5]]:1: error: sdwa variant of this instruction is not supported
// NOSI: :[[@LINE-6]]:1: error: instruction not supported on this GPU (tahiti): v_ceil_f16
// NOVI: :[[@LINE-7]]:22: error: invalid operand for instruction
// NOSICIVI: :[[@LINE-1]]:1: error: instruction not supported on this GPU

v_ceil_f16_sdwa v5, -scc dst_sel:DWORD dst_unused:UNUSED_PRESERVE
// GFX9: v_ceil_f16_sdwa v5, -src_scc dst_sel:DWORD dst_unused:UNUSED_PRESERVE src0_sel:DWORD ; encoding: [0xf9,0x8a,0x0a,0x7e,0xfd,0x16,0x96,0x00]
// NOCI: :[[@LINE-2]]:1: error: instruction not supported on this GPU (bonaire): v_ceil_f16
// NOGFX11: :[[@LINE-3]]:1: error: sdwa variant of this instruction is not supported
// NOGFX12: :[[@LINE-4]]:1: error: sdwa variant of this instruction is not supported
// NOGFX1250: :[[@LINE-5]]:1: error: sdwa variant of this instruction is not supported
// NOSI: :[[@LINE-6]]:1: error: instruction not supported on this GPU (tahiti): v_ceil_f16
// NOVI: :[[@LINE-7]]:22: error: invalid operand for instruction
// NOSICIVI: :[[@LINE-1]]:1: error: instruction not supported on this GPU

v_ceil_f32_sdwa v5, vccz dst_sel:DWORD src0_sel:DWORD
// GFX9: v_ceil_f32_sdwa v5, src_vccz dst_sel:DWORD dst_unused:UNUSED_PRESERVE src0_sel:DWORD ; encoding: [0xf9,0x3a,0x0a,0x7e,0xfb,0x16,0x86,0x00]
// NOGFX11: :[[@LINE-2]]:1: error: sdwa variant of this instruction is not supported
// NOGFX12: :[[@LINE-3]]:1: error: sdwa variant of this instruction is not supported
// NOGFX1250: :[[@LINE-4]]:1: error: sdwa variant of this instruction is not supported
// NOSICI: :[[@LINE-5]]:1: error: sdwa variant of this instruction is not supported
// NOVI: :[[@LINE-6]]:21: error: invalid operand for instruction

v_ceil_f32_sdwa v5, |execz| dst_sel:DWORD src0_sel:DWORD
// GFX9: v_ceil_f32_sdwa v5, |src_execz| dst_sel:DWORD dst_unused:UNUSED_PRESERVE src0_sel:DWORD ; encoding: [0xf9,0x3a,0x0a,0x7e,0xfc,0x16,0xa6,0x00]
// NOGFX11: :[[@LINE-2]]:1: error: sdwa variant of this instruction is not supported
// NOGFX12: :[[@LINE-3]]:1: error: sdwa variant of this instruction is not supported
// NOGFX1250: :[[@LINE-4]]:1: error: sdwa variant of this instruction is not supported
// NOSICI: :[[@LINE-5]]:1: error: sdwa variant of this instruction is not supported
// NOVI: :[[@LINE-6]]:22: error: invalid operand for instruction

//---------------------------------------------------------------------------//
// named inline values: shared_base, shared_limit, private_base, etc
//---------------------------------------------------------------------------//

buffer_atomic_add v0, off, s[0:3], src_shared_base offset:4095
// GFX11: buffer_atomic_add_u32 v0, off, s[0:3], src_shared_base offset:4095 ; encoding: [0xff,0x0f,0xd4,0xe0,0x00,0x00,0x00,0xeb]
// GFX9: buffer_atomic_add v0, off, s[0:3], src_shared_base offset:4095 ; encoding: [0xff,0x0f,0x08,0xe1,0x00,0x00,0x00,0xeb]
// NOGFX12: :[[@LINE-3]]:1: error: operands are not valid for this GPU or mode
// NOGFX1250: :[[@LINE-4]]:1: error: operands are not valid for this GPU or mode
// NOSICI: :[[@LINE-5]]:36: error: src_shared_base register not available on this GPU
// NOVI: :[[@LINE-6]]:36: error: src_shared_base register not available on this GPU

s_add_i32 s0, src_shared_base, s0
// GFX11: s_add_i32 s0, src_shared_base, s0       ; encoding: [0xeb,0x00,0x00,0x81]
// GFX12XX: s_add_co_i32 s0, src_shared_base, s0    ; encoding: [0xeb,0x00,0x00,0x81]
// GFX9: s_add_i32 s0, src_shared_base, s0       ; encoding: [0xeb,0x00,0x00,0x81]
// NOSICI: :[[@LINE-4]]:15: error: src_shared_base register not available on this GPU
// NOVI: :[[@LINE-5]]:15: error: src_shared_base register not available on this GPU

s_add_i32 s0, src_shared_limit, s0
// GFX11: s_add_i32 s0, src_shared_limit, s0      ; encoding: [0xec,0x00,0x00,0x81]
// GFX12XX: s_add_co_i32 s0, src_shared_limit, s0   ; encoding: [0xec,0x00,0x00,0x81]
// GFX9: s_add_i32 s0, src_shared_limit, s0      ; encoding: [0xec,0x00,0x00,0x81]
// NOSICI: :[[@LINE-4]]:15: error: src_shared_limit register not available on this GPU
// NOVI: :[[@LINE-5]]:15: error: src_shared_limit register not available on this GPU

s_add_i32 s0, src_private_base, s0
// GFX11: s_add_i32 s0, src_private_base, s0      ; encoding: [0xed,0x00,0x00,0x81]
// GFX12XX: s_add_co_i32 s0, src_private_base, s0   ; encoding: [0xed,0x00,0x00,0x81]
// GFX9: s_add_i32 s0, src_private_base, s0      ; encoding: [0xed,0x00,0x00,0x81]
// NOSICI: :[[@LINE-4]]:15: error: src_private_base register not available on this GPU
// NOVI: :[[@LINE-5]]:15: error: src_private_base register not available on this GPU

s_add_i32 s0, src_private_limit, s0
// GFX11: s_add_i32 s0, src_private_limit, s0     ; encoding: [0xee,0x00,0x00,0x81]
// GFX12XX: s_add_co_i32 s0, src_private_limit, s0  ; encoding: [0xee,0x00,0x00,0x81]
// GFX9: s_add_i32 s0, src_private_limit, s0     ; encoding: [0xee,0x00,0x00,0x81]
// NOSICI: :[[@LINE-4]]:15: error: src_private_limit register not available on this GPU
// NOVI: :[[@LINE-5]]:15: error: src_private_limit register not available on this GPU

s_add_i32 s0, src_pops_exiting_wave_id, s0
// GFX9: s_add_i32 s0, src_pops_exiting_wave_id, s0 ; encoding: [0xef,0x00,0x00,0x81]
// NOGFX11: :[[@LINE-2]]:15: error: src_pops_exiting_wave_id register not available on this GPU
// NOGFX12: :[[@LINE-3]]:15: error: src_pops_exiting_wave_id register not available on this GPU
// NOGFX1250: :[[@LINE-4]]:15: error: src_pops_exiting_wave_id register not available on this GPU
// NOSICI: :[[@LINE-5]]:15: error: src_pops_exiting_wave_id register not available on this GPU
// NOVI: :[[@LINE-6]]:15: error: src_pops_exiting_wave_id register not available on this GPU

s_and_b64 s[0:1], s[0:1], src_shared_base
// GFX11: s_and_b64 s[0:1], s[0:1], src_shared_base ; encoding: [0x00,0xeb,0x80,0x8b]
// GFX12XX: s_and_b64 s[0:1], s[0:1], src_shared_base ; encoding: [0x00,0xeb,0x80,0x8b]
// GFX9: s_and_b64 s[0:1], s[0:1], src_shared_base ; encoding: [0x00,0xeb,0x80,0x86]
// NOSICI: :[[@LINE-4]]:27: error: src_shared_base register not available on this GPU
// NOVI: :[[@LINE-5]]:27: error: src_shared_base register not available on this GPU

s_and_b64 s[0:1], s[0:1], src_shared_limit
// GFX11: s_and_b64 s[0:1], s[0:1], src_shared_limit ; encoding: [0x00,0xec,0x80,0x8b]
// GFX12XX: s_and_b64 s[0:1], s[0:1], src_shared_limit ; encoding: [0x00,0xec,0x80,0x8b]
// GFX9: s_and_b64 s[0:1], s[0:1], src_shared_limit ; encoding: [0x00,0xec,0x80,0x86]
// NOSICI: :[[@LINE-4]]:27: error: src_shared_limit register not available on this GPU
// NOVI: :[[@LINE-5]]:27: error: src_shared_limit register not available on this GPU

s_and_b64 s[0:1], s[0:1], src_private_base
// GFX11: s_and_b64 s[0:1], s[0:1], src_private_base ; encoding: [0x00,0xed,0x80,0x8b]
// GFX12XX: s_and_b64 s[0:1], s[0:1], src_private_base ; encoding: [0x00,0xed,0x80,0x8b]
// GFX9: s_and_b64 s[0:1], s[0:1], src_private_base ; encoding: [0x00,0xed,0x80,0x86]
// NOSICI: :[[@LINE-4]]:27: error: src_private_base register not available on this GPU
// NOVI: :[[@LINE-5]]:27: error: src_private_base register not available on this GPU

s_and_b64 s[0:1], s[0:1], src_private_limit
// GFX11: s_and_b64 s[0:1], s[0:1], src_private_limit ; encoding: [0x00,0xee,0x80,0x8b]
// GFX12XX: s_and_b64 s[0:1], s[0:1], src_private_limit ; encoding: [0x00,0xee,0x80,0x8b]
// GFX9: s_and_b64 s[0:1], s[0:1], src_private_limit ; encoding: [0x00,0xee,0x80,0x86]
// NOSICI: :[[@LINE-4]]:27: error: src_private_limit register not available on this GPU
// NOVI: :[[@LINE-5]]:27: error: src_private_limit register not available on this GPU

s_and_b64 s[0:1], s[0:1], src_pops_exiting_wave_id
// GFX9: s_and_b64 s[0:1], s[0:1], src_pops_exiting_wave_id ; encoding: [0x00,0xef,0x80,0x86]
// NOGFX11: :[[@LINE-2]]:27: error: src_pops_exiting_wave_id register not available on this GPU
// NOGFX12: :[[@LINE-3]]:27: error: src_pops_exiting_wave_id register not available on this GPU
// NOGFX1250: :[[@LINE-4]]:27: error: src_pops_exiting_wave_id register not available on this GPU
// NOSICI: :[[@LINE-5]]:27: error: src_pops_exiting_wave_id register not available on this GPU
// NOVI: :[[@LINE-6]]:27: error: src_pops_exiting_wave_id register not available on this GPU

v_add_u16 v0, src_shared_base, v0
// GFX9: v_add_u16_e32 v0, src_shared_base, v0   ; encoding: [0xeb,0x00,0x00,0x4c]
// NOCI: :[[@LINE-2]]:1: error: instruction not supported on this GPU (bonaire): v_add_u16
// NOGFX11: :[[@LINE-3]]:1: error: instruction not supported on this GPU (gfx1100): v_add_u16
// NOGFX12: :[[@LINE-4]]:1: error: instruction not supported on this GPU (gfx1200): v_add_u16
// NOGFX1250: :[[@LINE-5]]:1: error: instruction not supported on this GPU (gfx1250): v_add_u16
// NOSI: :[[@LINE-6]]:1: error: instruction not supported on this GPU (tahiti): v_add_u16
// NOVI: :[[@LINE-7]]:15: error: src_shared_base register not available on this GPU
// NOSICIVI: :[[@LINE-1]]:1: error: instruction not supported on this GPU

v_add_u16_sdwa v0, src_shared_base, v0 dst_sel:DWORD dst_unused:UNUSED_PAD src0_sel:DWORD src1_sel:DWORD
// GFX9: v_add_u16_sdwa v0, src_shared_base, v0 dst_sel:DWORD dst_unused:UNUSED_PAD src0_sel:DWORD src1_sel:DWORD ; encoding: [0xf9,0x00,0x00,0x4c,0xeb,0x06,0x86,0x06]
// NOCI: :[[@LINE-2]]:1: error: instruction not supported on this GPU (bonaire): v_add_u16
// NOGFX11: :[[@LINE-3]]:1: error: instruction not supported on this GPU (gfx1100): v_add_u16
// NOGFX12: :[[@LINE-4]]:1: error: instruction not supported on this GPU (gfx1200): v_add_u16
// NOGFX1250: :[[@LINE-5]]:1: error: instruction not supported on this GPU (gfx1250): v_add_u16
// NOSI: :[[@LINE-6]]:1: error: instruction not supported on this GPU (tahiti): v_add_u16
// NOVI: :[[@LINE-7]]:20: error: src_shared_base register not available on this GPU
// NOSICIVI: :[[@LINE-1]]:1: error: instruction not supported on this GPU

v_add_u16_sdwa v0, v0, src_shared_base dst_sel:DWORD dst_unused:UNUSED_PAD src0_sel:DWORD src1_sel:DWORD
// GFX9: v_add_u16_sdwa v0, v0, src_shared_base dst_sel:DWORD dst_unused:UNUSED_PAD src0_sel:DWORD src1_sel:DWORD ; encoding: [0xf9,0xd6,0x01,0x4c,0x00,0x06,0x06,0x86]
// NOCI: :[[@LINE-2]]:1: error: instruction not supported on this GPU (bonaire): v_add_u16
// NOGFX11: :[[@LINE-3]]:1: error: instruction not supported on this GPU (gfx1100): v_add_u16
// NOGFX12: :[[@LINE-4]]:1: error: instruction not supported on this GPU (gfx1200): v_add_u16
// NOGFX1250: :[[@LINE-5]]:1: error: instruction not supported on this GPU (gfx1250): v_add_u16
// NOSI: :[[@LINE-6]]:1: error: instruction not supported on this GPU (tahiti): v_add_u16
// NOVI: :[[@LINE-7]]:24: error: src_shared_base register not available on this GPU
// NOSICIVI: :[[@LINE-1]]:1: error: instruction not supported on this GPU

v_add_u32 v0, src_shared_base, v0
// GFX11: v_add_nc_u32_e32 v0, src_shared_base, v0 ; encoding: [0xeb,0x00,0x00,0x4a]
// GFX12XX: v_add_nc_u32_e32 v0, src_shared_base, v0 ; encoding: [0xeb,0x00,0x00,0x4a]
// GFX9: v_add_u32_e32 v0, src_shared_base, v0   ; encoding: [0xeb,0x00,0x00,0x68]
// NOCI: :[[@LINE-4]]:1: error: instruction not supported on this GPU (bonaire): v_add_u32
// NOSI: :[[@LINE-5]]:1: error: instruction not supported on this GPU (tahiti): v_add_u32
// NOVI: :[[@LINE-6]]:15: error: src_shared_base register not available on this GPU
// NOSICIVI: :[[@LINE-1]]:1: error: instruction not supported on this GPU

v_add_u32_e64 v0, src_shared_base, v0
// GFX11: v_add_nc_u32_e64 v0, src_shared_base, v0 ; encoding: [0x00,0x00,0x25,0xd5,0xeb,0x00,0x02,0x02]
// GFX12XX: v_add_nc_u32_e64 v0, src_shared_base, v0 ; encoding: [0x00,0x00,0x25,0xd5,0xeb,0x00,0x02,0x02]
// GFX9: v_add_u32_e64 v0, src_shared_base, v0   ; encoding: [0x00,0x00,0x34,0xd1,0xeb,0x00,0x02,0x00]
// NOCI: :[[@LINE-4]]:1: error: instruction not supported on this GPU (bonaire): v_add_u32
// NOSI: :[[@LINE-5]]:1: error: instruction not supported on this GPU (tahiti): v_add_u32
// NOVI: :[[@LINE-6]]:19: error: src_shared_base register not available on this GPU
// NOSICIVI: :[[@LINE-1]]:1: error: instruction not supported on this GPU

v_cmp_eq_i64 vcc, src_shared_base, v[0:1]
// GFX9: v_cmp_eq_i64_e32 vcc, src_shared_base, v[0:1] ; encoding: [0xeb,0x00,0xc4,0x7d]
// NOGFX11: :[[@LINE-2]]:1: error: operands are not valid for this GPU or mode
// NOGFX12: :[[@LINE-3]]:1: error: operands are not valid for this GPU or mode
// NOGFX1250: :[[@LINE-4]]:1: error: operands are not valid for this GPU or mode
// NOSICI: :[[@LINE-5]]:19: error: src_shared_base register not available on this GPU
// NOVI: :[[@LINE-6]]:19: error: src_shared_base register not available on this GPU

v_max_f16 v0, src_shared_base, v0
// GFX9: v_max_f16_e32 v0, src_shared_base, v0   ; encoding: [0xeb,0x00,0x00,0x5a]
// NOCI: :[[@LINE-2]]:1: error: instruction not supported on this GPU (bonaire): v_max_f16
// NOGFX11: :[[@LINE-3]]:1: error: operands are not valid for this GPU or mode
// NOGFX12: :[[@LINE-4]]:1: error: operands are not valid for this GPU or mode
// NOGFX1250: :[[@LINE-5]]:1: error: operands are not valid for this GPU or mode
// NOSI: :[[@LINE-6]]:1: error: instruction not supported on this GPU (tahiti): v_max_f16
// NOVI: :[[@LINE-7]]:15: error: src_shared_base register not available on this GPU
// NOSICIVI: :[[@LINE-1]]:1: error: instruction not supported on this GPU

v_max_f16 v0.l, src_shared_base, v0.l
// GFX11: v_max_f16_e32 v0.l, src_shared_base, v0.l ; encoding: [0xeb,0x00,0x00,0x72]
// GFX12XX: v_max_num_f16_e32 v0.l, src_shared_base, v0.l ; encoding: [0xeb,0x00,0x00,0x62]
// NOCI: :[[@LINE-3]]:1: error: instruction not supported on this GPU (bonaire): v_max_f16
// NOGFX9: :[[@LINE-4]]:1: error: operands are not valid for this GPU or mode
// NOSI: :[[@LINE-5]]:1: error: instruction not supported on this GPU (tahiti): v_max_f16
// NOVI: :[[@LINE-6]]:17: error: src_shared_base register not available on this GPU

v_max_f32 v0, src_shared_base, v0
// GFX11: v_max_f32_e32 v0, src_shared_base, v0   ; encoding: [0xeb,0x00,0x00,0x20]
// GFX12XX: v_max_num_f32_e32 v0, src_shared_base, v0 ; encoding: [0xeb,0x00,0x00,0x2c]
// GFX9: v_max_f32_e32 v0, src_shared_base, v0   ; encoding: [0xeb,0x00,0x00,0x16]
// NOSICI: :[[@LINE-4]]:15: error: src_shared_base register not available on this GPU
// NOVI: :[[@LINE-5]]:15: error: src_shared_base register not available on this GPU

v_max_f64 v[0:1], src_shared_base, v[0:1]
// GFX11: v_max_f64 v[0:1], src_shared_base, v[0:1] ; encoding: [0x00,0x00,0x2a,0xd7,0xeb,0x00,0x02,0x02]
// GFX12XX: v_max_num_f64_e32 v[0:1], src_shared_base, v[0:1] ; encoding: [0xeb,0x00,0x00,0x1c]
// GFX9: v_max_f64 v[0:1], src_shared_base, v[0:1] ; encoding: [0x00,0x00,0x83,0xd2,0xeb,0x00,0x02,0x00]
// NOSICI: :[[@LINE-4]]:19: error: src_shared_base register not available on this GPU
// NOVI: :[[@LINE-5]]:19: error: src_shared_base register not available on this GPU

v_pk_add_f16 v0, src_shared_base, v0
// GFX11: v_pk_add_f16 v0, src_shared_base, v0    ; encoding: [0x00,0x40,0x0f,0xcc,0xeb,0x00,0x02,0x1a]
// GFX12XX: v_pk_add_f16 v0, src_shared_base, v0    ; encoding: [0x00,0x40,0x0f,0xcc,0xeb,0x00,0x02,0x1a]
// GFX9: v_pk_add_f16 v0, src_shared_base, v0    ; encoding: [0x00,0x40,0x8f,0xd3,0xeb,0x00,0x02,0x18]
// NOCI: :[[@LINE-4]]:1: error: instruction not supported on this GPU (bonaire): v_pk_add_f16
// NOSI: :[[@LINE-5]]:1: error: instruction not supported on this GPU (tahiti): v_pk_add_f16
// NOVI: :[[@LINE-6]]:1: error: instruction not supported on this GPU (tonga): v_pk_add_f16
// NOSICIVI: :[[@LINE-1]]:1: error: instruction not supported on this GPU

v_ceil_f16 v0, neg(src_shared_base)
// GFX9: v_ceil_f16_e64 v0, -src_shared_base     ; encoding: [0x00,0x00,0x85,0xd1,0xeb,0x00,0x00,0x20]
// NOCI: :[[@LINE-2]]:1: error: instruction not supported on this GPU (bonaire): v_ceil_f16
// NOGFX11: :[[@LINE-3]]:1: error: operands are not valid for this GPU or mode
// NOGFX12: :[[@LINE-4]]:1: error: operands are not valid for this GPU or mode
// NOGFX1250: :[[@LINE-5]]:1: error: operands are not valid for this GPU or mode
// NOSI: :[[@LINE-6]]:1: error: instruction not supported on this GPU (tahiti): v_ceil_f16
// NOVI: :[[@LINE-7]]:20: error: src_shared_base register not available on this GPU
// NOSICIVI: :[[@LINE-1]]:1: error: instruction not supported on this GPU

v_ceil_f16 v0.l, neg(src_shared_base)
// GFX11: v_ceil_f16_e64 v0.l, -src_shared_base   ; encoding: [0x00,0x00,0xdc,0xd5,0xeb,0x00,0x01,0x22]
// GFX12XX: v_ceil_f16_e64 v0.l, -src_shared_base   ; encoding: [0x00,0x00,0xdc,0xd5,0xeb,0x00,0x01,0x22]
// NOCI: :[[@LINE-3]]:1: error: instruction not supported on this GPU (bonaire): v_ceil_f16
// NOGFX9: :[[@LINE-4]]:1: error: operands are not valid for this GPU or mode
// NOSI: :[[@LINE-5]]:1: error: instruction not supported on this GPU (tahiti): v_ceil_f16
// NOVI: :[[@LINE-6]]:22: error: src_shared_base register not available on this GPU

v_ceil_f16 v0, abs(src_shared_base)
// GFX9: v_ceil_f16_e64 v0, |src_shared_base|    ; encoding: [0x00,0x01,0x85,0xd1,0xeb,0x00,0x00,0x00]
// NOCI: :[[@LINE-2]]:1: error: instruction not supported on this GPU (bonaire): v_ceil_f16
// NOGFX11: :[[@LINE-3]]:1: error: operands are not valid for this GPU or mode
// NOGFX12: :[[@LINE-4]]:1: error: operands are not valid for this GPU or mode
// NOGFX1250: :[[@LINE-5]]:1: error: operands are not valid for this GPU or mode
// NOSI: :[[@LINE-6]]:1: error: instruction not supported on this GPU (tahiti): v_ceil_f16
// NOVI: :[[@LINE-7]]:20: error: src_shared_base register not available on this GPU
// NOSICIVI: :[[@LINE-1]]:1: error: instruction not supported on this GPU

v_ceil_f16 v0.l, abs(src_shared_base)
// GFX11: v_ceil_f16_e64 v0.l, |src_shared_base|  ; encoding: [0x00,0x01,0xdc,0xd5,0xeb,0x00,0x01,0x02]
// GFX12XX: v_ceil_f16_e64 v0.l, |src_shared_base|  ; encoding: [0x00,0x01,0xdc,0xd5,0xeb,0x00,0x01,0x02]
// NOCI: :[[@LINE-3]]:1: error: instruction not supported on this GPU (bonaire): v_ceil_f16
// NOGFX9: :[[@LINE-4]]:1: error: operands are not valid for this GPU or mode
// NOSI: :[[@LINE-5]]:1: error: instruction not supported on this GPU (tahiti): v_ceil_f16
// NOVI: :[[@LINE-6]]:22: error: src_shared_base register not available on this GPU

v_ceil_f64 v[5:6], |src_shared_base|
// GFX11: v_ceil_f64_e64 v[5:6], |src_shared_base| ; encoding: [0x05,0x01,0x98,0xd5,0xeb,0x00,0x01,0x02]
// GFX12: v_ceil_f64_e64 v[5:6], |src_shared_base| ; encoding: [0x05,0x01,0x98,0xd5,0xeb,0x00,0x01,0x02]
// GFX9: v_ceil_f64_e64 v[5:6], |src_shared_base| ; encoding: [0x05,0x01,0x58,0xd1,0xeb,0x00,0x00,0x00]
// NOCI: :[[@LINE-4]]:21: error: src_shared_base register not available on this GPU
// NOGFX1250: :[[@LINE-5]]:12: error: invalid operand for instruction
// NOSI: :[[@LINE-6]]:1: error: instruction not supported on this GPU (tahiti): v_ceil_f64
// NOVI: :[[@LINE-7]]:21: error: src_shared_base register not available on this GPU

v_ceil_f64 v[5:6], -src_shared_base
// GFX11: v_ceil_f64_e64 v[5:6], -src_shared_base ; encoding: [0x05,0x00,0x98,0xd5,0xeb,0x00,0x01,0x22]
// GFX12: v_ceil_f64_e64 v[5:6], -src_shared_base ; encoding: [0x05,0x00,0x98,0xd5,0xeb,0x00,0x01,0x22]
// GFX9: v_ceil_f64_e64 v[5:6], -src_shared_base ; encoding: [0x05,0x00,0x58,0xd1,0xeb,0x00,0x00,0x20]
// NOCI: :[[@LINE-4]]:21: error: src_shared_base register not available on this GPU
// NOGFX1250: :[[@LINE-5]]:12: error: invalid operand for instruction
// NOSI: :[[@LINE-6]]:1: error: instruction not supported on this GPU (tahiti): v_ceil_f64
// NOVI: :[[@LINE-7]]:21: error: src_shared_base register not available on this GPU

v_ceil_f32 v0, -src_shared_base
// GFX11: v_ceil_f32_e64 v0, -src_shared_base     ; encoding: [0x00,0x00,0xa2,0xd5,0xeb,0x00,0x01,0x22]
// GFX12XX: v_ceil_f32_e64 v0, -src_shared_base     ; encoding: [0x00,0x00,0xa2,0xd5,0xeb,0x00,0x01,0x22]
// GFX9: v_ceil_f32_e64 v0, -src_shared_base     ; encoding: [0x00,0x00,0x5d,0xd1,0xeb,0x00,0x00,0x20]
// NOSICI: :[[@LINE-4]]:17: error: src_shared_base register not available on this GPU
// NOVI: :[[@LINE-5]]:17: error: src_shared_base register not available on this GPU

v_ceil_f32 v0, |src_shared_base|
// GFX11: v_ceil_f32_e64 v0, |src_shared_base|    ; encoding: [0x00,0x01,0xa2,0xd5,0xeb,0x00,0x01,0x02]
// GFX12XX: v_ceil_f32_e64 v0, |src_shared_base|    ; encoding: [0x00,0x01,0xa2,0xd5,0xeb,0x00,0x01,0x02]
// GFX9: v_ceil_f32_e64 v0, |src_shared_base|    ; encoding: [0x00,0x01,0x5d,0xd1,0xeb,0x00,0x00,0x00]
// NOSICI: :[[@LINE-4]]:17: error: src_shared_base register not available on this GPU
// NOVI: :[[@LINE-5]]:17: error: src_shared_base register not available on this GPU

v_ceil_f16_sdwa v5, |src_shared_base| dst_sel:DWORD dst_unused:UNUSED_PRESERVE
// GFX9: v_ceil_f16_sdwa v5, |src_shared_base| dst_sel:DWORD dst_unused:UNUSED_PRESERVE src0_sel:DWORD ; encoding: [0xf9,0x8a,0x0a,0x7e,0xeb,0x16,0xa6,0x00]
// NOCI: :[[@LINE-2]]:1: error: instruction not supported on this GPU (bonaire): v_ceil_f16
// NOGFX11: :[[@LINE-3]]:1: error: sdwa variant of this instruction is not supported
// NOGFX12: :[[@LINE-4]]:1: error: sdwa variant of this instruction is not supported
// NOGFX1250: :[[@LINE-5]]:1: error: sdwa variant of this instruction is not supported
// NOSI: :[[@LINE-6]]:1: error: instruction not supported on this GPU (tahiti): v_ceil_f16
// NOVI: :[[@LINE-7]]:22: error: src_shared_base register not available on this GPU
// NOSICIVI: :[[@LINE-1]]:1: error: instruction not supported on this GPU

v_ceil_f16_sdwa v5, -src_shared_base dst_sel:DWORD dst_unused:UNUSED_PRESERVE
// GFX9: v_ceil_f16_sdwa v5, -src_shared_base dst_sel:DWORD dst_unused:UNUSED_PRESERVE src0_sel:DWORD ; encoding: [0xf9,0x8a,0x0a,0x7e,0xeb,0x16,0x96,0x00]
// NOCI: :[[@LINE-2]]:1: error: instruction not supported on this GPU (bonaire): v_ceil_f16
// NOGFX11: :[[@LINE-3]]:1: error: sdwa variant of this instruction is not supported
// NOGFX12: :[[@LINE-4]]:1: error: sdwa variant of this instruction is not supported
// NOGFX1250: :[[@LINE-5]]:1: error: sdwa variant of this instruction is not supported
// NOSI: :[[@LINE-6]]:1: error: instruction not supported on this GPU (tahiti): v_ceil_f16
// NOVI: :[[@LINE-7]]:22: error: src_shared_base register not available on this GPU
// NOSICIVI: :[[@LINE-1]]:1: error: instruction not supported on this GPU

v_ceil_f32_sdwa v5, src_shared_base dst_sel:DWORD src0_sel:DWORD
// GFX9: v_ceil_f32_sdwa v5, src_shared_base dst_sel:DWORD dst_unused:UNUSED_PRESERVE src0_sel:DWORD ; encoding: [0xf9,0x3a,0x0a,0x7e,0xeb,0x16,0x86,0x00]
// NOGFX11: :[[@LINE-2]]:1: error: sdwa variant of this instruction is not supported
// NOGFX12: :[[@LINE-3]]:1: error: sdwa variant of this instruction is not supported
// NOGFX1250: :[[@LINE-4]]:1: error: sdwa variant of this instruction is not supported
// NOSICI: :[[@LINE-5]]:1: error: sdwa variant of this instruction is not supported
// NOVI: :[[@LINE-6]]:21: error: src_shared_base register not available on this GPU

v_ceil_f32_sdwa v5, |src_shared_base| dst_sel:DWORD src0_sel:DWORD
// GFX9: v_ceil_f32_sdwa v5, |src_shared_base| dst_sel:DWORD dst_unused:UNUSED_PRESERVE src0_sel:DWORD ; encoding: [0xf9,0x3a,0x0a,0x7e,0xeb,0x16,0xa6,0x00]
// NOGFX11: :[[@LINE-2]]:1: error: sdwa variant of this instruction is not supported
// NOGFX12: :[[@LINE-3]]:1: error: sdwa variant of this instruction is not supported
// NOGFX1250: :[[@LINE-4]]:1: error: sdwa variant of this instruction is not supported
// NOSICI: :[[@LINE-5]]:1: error: sdwa variant of this instruction is not supported
// NOVI: :[[@LINE-6]]:22: error: src_shared_base register not available on this GPU

//---------------------------------------------------------------------------//
// named inline values compete with other scalars for constant bus access
//---------------------------------------------------------------------------//

v_add_u32 v0, private_base, s0
// GFX11: v_add_nc_u32_e64 v0, src_private_base, s0 ; encoding: [0x00,0x00,0x25,0xd5,0xed,0x00,0x00,0x02]
// GFX12XX: v_add_nc_u32_e64 v0, src_private_base, s0 ; encoding: [0x00,0x00,0x25,0xd5,0xed,0x00,0x00,0x02]
// NOCI: :[[@LINE-3]]:1: error: instruction not supported on this GPU (bonaire): v_add_u32
// NOGFX9: :[[@LINE-4]]:29: error: invalid operand (violates constant bus restrictions)
// NOSI: :[[@LINE-5]]:1: error: instruction not supported on this GPU (tahiti): v_add_u32
// NOVI: :[[@LINE-6]]:15: error: src_private_base register not available on this GPU
// NOSICIVI: :[[@LINE-1]]:1: error: instruction not supported on this GPU

v_add_u32 v0, scc, s0
// GFX11: v_add_nc_u32_e64 v0, src_scc, s0        ; encoding: [0x00,0x00,0x25,0xd5,0xfd,0x00,0x00,0x02]
// GFX12XX: v_add_nc_u32_e64 v0, src_scc, s0        ; encoding: [0x00,0x00,0x25,0xd5,0xfd,0x00,0x00,0x02]
// NOCI: :[[@LINE-3]]:1: error: instruction not supported on this GPU (bonaire): v_add_u32
// NOGFX9: :[[@LINE-4]]:20: error: invalid operand (violates constant bus restrictions)
// NOSI: :[[@LINE-5]]:1: error: instruction not supported on this GPU (tahiti): v_add_u32
// NOVI: :[[@LINE-6]]:1: error: operands are not valid for this GPU or mode
// NOSICIVI: :[[@LINE-1]]:1: error: instruction not supported on this GPU

// v_div_fmas implicitly reads VCC
v_div_fmas_f32 v0, shared_base, v0, v1
// GFX11: v_div_fmas_f32 v0, src_shared_base, v0, v1 ; encoding: [0x00,0x00,0x37,0xd6,0xeb,0x00,0x06,0x04]
// GFX12XX: v_div_fmas_f32 v0, src_shared_base, v0, v1 ; encoding: [0x00,0x00,0x37,0xd6,0xeb,0x00,0x06,0x04]
// NOGFX9: :[[@LINE-3]]:20: error: invalid operand (violates constant bus restrictions)
// NOSICI: :[[@LINE-4]]:20: error: src_shared_base register not available on this GPU
// NOVI: :[[@LINE-5]]:20: error: src_shared_base register not available on this GPU

// v_div_fmas implicitly reads VCC
v_div_fmas_f32 v0, v0, shared_limit, v1
// GFX11: v_div_fmas_f32 v0, v0, src_shared_limit, v1 ; encoding: [0x00,0x00,0x37,0xd6,0x00,0xd9,0x05,0x04]
// GFX12XX: v_div_fmas_f32 v0, v0, src_shared_limit, v1 ; encoding: [0x00,0x00,0x37,0xd6,0x00,0xd9,0x05,0x04]
// NOGFX9: :[[@LINE-3]]:24: error: invalid operand (violates constant bus restrictions)
// NOSICI: :[[@LINE-4]]:24: error: src_shared_limit register not available on this GPU
// NOVI: :[[@LINE-5]]:24: error: src_shared_limit register not available on this GPU

// v_div_fmas implicitly reads VCC
v_div_fmas_f32 v0, v0, v1, private_limit
// GFX11: v_div_fmas_f32 v0, v0, v1, src_private_limit ; encoding: [0x00,0x00,0x37,0xd6,0x00,0x03,0xba,0x03]
// GFX12XX: v_div_fmas_f32 v0, v0, v1, src_private_limit ; encoding: [0x00,0x00,0x37,0xd6,0x00,0x03,0xba,0x03]
// NOGFX9: :[[@LINE-3]]:28: error: invalid operand (violates constant bus restrictions)
// NOSICI: :[[@LINE-4]]:28: error: src_private_limit register not available on this GPU
// NOVI: :[[@LINE-5]]:28: error: src_private_limit register not available on this GPU

// v_div_fmas implicitly reads VCC
v_div_fmas_f32 v0, execz, v0, v1
// NOGFX11: :[[@LINE-1]]:20: error: src_execz register not available on this GPU
// NOGFX12: :[[@LINE-2]]:20: error: src_execz register not available on this GPU
// NOGFX1250: :[[@LINE-3]]:20: error: src_execz register not available on this GPU
// NOGFX89: :[[@LINE-4]]:20: error: invalid operand (violates constant bus restrictions)
// NOSICI: :[[@LINE-5]]:20: error: invalid operand (violates constant bus restrictions)

// v_div_fmas implicitly reads VCC
v_div_fmas_f32 v0, v0, scc, v1
// GFX11: v_div_fmas_f32 v0, v0, src_scc, v1      ; encoding: [0x00,0x00,0x37,0xd6,0x00,0xfb,0x05,0x04]
// GFX12XX: v_div_fmas_f32 v0, v0, src_scc, v1      ; encoding: [0x00,0x00,0x37,0xd6,0x00,0xfb,0x05,0x04]
// NOGFX89: :[[@LINE-3]]:24: error: invalid operand (violates constant bus restrictions)
// NOSICI: :[[@LINE-4]]:24: error: invalid operand (violates constant bus restrictions)

// v_div_fmas implicitly reads VCC
v_div_fmas_f32 v0, v0, v1, vccz
// NOGFX11: :[[@LINE-1]]:28: error: src_vccz register not available on this GPU
// NOGFX12: :[[@LINE-2]]:28: error: src_vccz register not available on this GPU
// NOGFX1250: :[[@LINE-3]]:28: error: src_vccz register not available on this GPU
// NOGFX89: :[[@LINE-4]]:28: error: invalid operand (violates constant bus restrictions)
// NOSICI: :[[@LINE-5]]:28: error: invalid operand (violates constant bus restrictions)

// v_addc_co_u32 implicitly reads VCC (VOP2)
v_addc_co_u32 v0, vcc, shared_base, v0, vcc
// NOCI: :[[@LINE-1]]:1: error: instruction not supported on this GPU (bonaire): v_addc_co_u32
// NOGFX11: :[[@LINE-2]]:1: error: instruction not supported on this GPU (gfx1100): v_addc_co_u32
// NOGFX12: :[[@LINE-3]]:1: error: instruction not supported on this GPU (gfx1200): v_addc_co_u32
// NOGFX1250: :[[@LINE-4]]:1: error: instruction not supported on this GPU (gfx1250): v_addc_co_u32
// NOGFX9: :[[@LINE-5]]:24: error: invalid operand (violates constant bus restrictions)
// NOSI: :[[@LINE-6]]:1: error: instruction not supported on this GPU (tahiti): v_addc_co_u32
// NOVI: :[[@LINE-7]]:1: error: instruction not supported on this GPU (tonga): v_addc_co_u32
// NOSICIVI: :[[@LINE-1]]:1: error: instruction not supported on this GPU

v_madak_f32 v0, shared_base, v0, 0x11213141
// NOGFX11: :[[@LINE-1]]:1: error: instruction not supported on this GPU (gfx1100): v_madak_f32
// NOGFX12: :[[@LINE-2]]:1: error: instruction not supported on this GPU (gfx1200): v_madak_f32
// NOGFX1250: :[[@LINE-3]]:1: error: instruction not supported on this GPU (gfx1250): v_madak_f32
// NOGFX9: :[[@LINE-4]]:17: error: invalid operand (violates constant bus restrictions)
// NOSICI: :[[@LINE-5]]:17: error: src_shared_base register not available on this GPU
// NOVI: :[[@LINE-6]]:17: error: src_shared_base register not available on this GPU

v_madak_f32 v0, scc, v0, 0x11213141
// NOGFX11: :[[@LINE-1]]:1: error: instruction not supported on this GPU (gfx1100): v_madak_f32
// NOGFX12: :[[@LINE-2]]:1: error: instruction not supported on this GPU (gfx1200): v_madak_f32
// NOGFX1250: :[[@LINE-3]]:1: error: instruction not supported on this GPU (gfx1250): v_madak_f32
// NOGFX89: :[[@LINE-4]]:17: error: invalid operand (violates constant bus restrictions)
// NOSICI: :[[@LINE-5]]:17: error: invalid operand (violates constant bus restrictions)

v_madak_f32 v0, 0xff32ff, v0, 0x11213141
// NOGFX11: :[[@LINE-1]]:1: error: instruction not supported on this GPU (gfx1100): v_madak_f32
// NOGFX12: :[[@LINE-2]]:1: error: instruction not supported on this GPU (gfx1200): v_madak_f32
// NOGFX1250: :[[@LINE-3]]:1: error: instruction not supported on this GPU (gfx1250): v_madak_f32
// NOGFX89: :[[@LINE-4]]:31: error: only one unique literal operand is allowed
// NOSICI: :[[@LINE-5]]:31: error: only one unique literal operand is allowed

v_madak_f32 v0, 0xff32ff, v0, 1
// NOGFX11: :[[@LINE-1]]:1: error: instruction not supported on this GPU (gfx1100): v_madak_f32
// NOGFX12: :[[@LINE-2]]:1: error: instruction not supported on this GPU (gfx1200): v_madak_f32
// NOGFX1250: :[[@LINE-3]]:1: error: instruction not supported on this GPU (gfx1250): v_madak_f32
// NOGFX89: :[[@LINE-4]]:31: error: only one unique literal operand is allowed
// NOSICI: :[[@LINE-5]]:31: error: only one unique literal operand is allowed

v_madmk_f32 v0, 0xff32ff, 0x11213141, v0
// NOGFX11: :[[@LINE-1]]:1: error: instruction not supported on this GPU (gfx1100): v_madmk_f32
// NOGFX12: :[[@LINE-2]]:1: error: instruction not supported on this GPU (gfx1200): v_madmk_f32
// NOGFX1250: :[[@LINE-3]]:1: error: instruction not supported on this GPU (gfx1250): v_madmk_f32
// NOGFX89: :[[@LINE-4]]:27: error: only one unique literal operand is allowed
// NOSICI: :[[@LINE-5]]:27: error: only one unique literal operand is allowed

v_madmk_f32 v0, 0xff32ff, -1, v0
// NOGFX11: :[[@LINE-1]]:1: error: instruction not supported on this GPU (gfx1100): v_madmk_f32
// NOGFX12: :[[@LINE-2]]:1: error: instruction not supported on this GPU (gfx1200): v_madmk_f32
// NOGFX1250: :[[@LINE-3]]:1: error: instruction not supported on this GPU (gfx1250): v_madmk_f32
// NOGFX89: :[[@LINE-4]]:27: error: only one unique literal operand is allowed
// NOSICI: :[[@LINE-5]]:27: error: only one unique literal operand is allowed

v_madak_f16 v0, 0xff32, v0, 0x1122
// NOCI: :[[@LINE-1]]:1: error: instruction not supported on this GPU (bonaire): v_madak_f16
// NOGFX11: :[[@LINE-2]]:1: error: instruction not supported on this GPU (gfx1100): v_madak_f16
// NOGFX12: :[[@LINE-3]]:1: error: instruction not supported on this GPU (gfx1200): v_madak_f16
// NOGFX1250: :[[@LINE-4]]:1: error: instruction not supported on this GPU (gfx1250): v_madak_f16
// NOGFX89: :[[@LINE-5]]:29: error: only one unique literal operand is allowed
// NOSI: :[[@LINE-6]]:1: error: instruction not supported on this GPU (tahiti): v_madak_f16
// NOSICIVI: :[[@LINE-1]]:1: error: instruction not supported on this GPU

v_madak_f16 v0, 0xff32, v0, 0
// NOCI: :[[@LINE-1]]:1: error: instruction not supported on this GPU (bonaire): v_madak_f16
// NOGFX11: :[[@LINE-2]]:1: error: instruction not supported on this GPU (gfx1100): v_madak_f16
// NOGFX12: :[[@LINE-3]]:1: error: instruction not supported on this GPU (gfx1200): v_madak_f16
// NOGFX1250: :[[@LINE-4]]:1: error: instruction not supported on this GPU (gfx1250): v_madak_f16
// NOGFX89: :[[@LINE-5]]:29: error: only one unique literal operand is allowed
// NOSI: :[[@LINE-6]]:1: error: instruction not supported on this GPU (tahiti): v_madak_f16
// NOSICIVI: :[[@LINE-1]]:1: error: instruction not supported on this GPU

v_madmk_f16 v0, 0xff32, 0x1122, v0
// NOCI: :[[@LINE-1]]:1: error: instruction not supported on this GPU (bonaire): v_madmk_f16
// NOGFX11: :[[@LINE-2]]:1: error: instruction not supported on this GPU (gfx1100): v_madmk_f16
// NOGFX12: :[[@LINE-3]]:1: error: instruction not supported on this GPU (gfx1200): v_madmk_f16
// NOGFX1250: :[[@LINE-4]]:1: error: instruction not supported on this GPU (gfx1250): v_madmk_f16
// NOGFX89: :[[@LINE-5]]:25: error: only one unique literal operand is allowed
// NOSI: :[[@LINE-6]]:1: error: instruction not supported on this GPU (tahiti): v_madmk_f16
// NOSICIVI: :[[@LINE-1]]:1: error: instruction not supported on this GPU

v_madmk_f16 v0, 0xff32, 1, v0
// NOCI: :[[@LINE-1]]:1: error: instruction not supported on this GPU (bonaire): v_madmk_f16
// NOGFX11: :[[@LINE-2]]:1: error: instruction not supported on this GPU (gfx1100): v_madmk_f16
// NOGFX12: :[[@LINE-3]]:1: error: instruction not supported on this GPU (gfx1200): v_madmk_f16
// NOGFX1250: :[[@LINE-4]]:1: error: instruction not supported on this GPU (gfx1250): v_madmk_f16
// NOGFX89: :[[@LINE-5]]:25: error: only one unique literal operand is allowed
// NOSI: :[[@LINE-6]]:1: error: instruction not supported on this GPU (tahiti): v_madmk_f16
// NOSICIVI: :[[@LINE-1]]:1: error: instruction not supported on this GPU

v_cmp_eq_f32 s[0:1], private_base, private_limit
// NOGFX11: :[[@LINE-1]]:14: error: invalid operand for instruction
// NOGFX12: :[[@LINE-2]]:14: error: invalid operand for instruction
// NOGFX1250: :[[@LINE-3]]:14: error: invalid operand for instruction
// NOGFX9: :[[@LINE-4]]:36: error: invalid operand (violates constant bus restrictions)
// NOSICI: :[[@LINE-5]]:22: error: src_private_base register not available on this GPU
// NOVI: :[[@LINE-6]]:22: error: src_private_base register not available on this GPU

v_cmp_eq_f32 s[0:1], private_base, s0
// NOGFX11: :[[@LINE-1]]:14: error: invalid operand for instruction
// NOGFX12: :[[@LINE-2]]:14: error: invalid operand for instruction
// NOGFX1250: :[[@LINE-3]]:14: error: invalid operand for instruction
// NOGFX9: :[[@LINE-4]]:36: error: invalid operand (violates constant bus restrictions)
// NOSICI: :[[@LINE-5]]:22: error: src_private_base register not available on this GPU
// NOVI: :[[@LINE-6]]:22: error: src_private_base register not available on this GPU

v_cmp_eq_f32 s[0:1], execz, s0
// NOGFX11: :[[@LINE-1]]:22: error: src_execz register not available on this GPU
// NOGFX12: :[[@LINE-2]]:22: error: src_execz register not available on this GPU
// NOGFX1250: :[[@LINE-3]]:22: error: src_execz register not available on this GPU
// NOGFX89: :[[@LINE-4]]:29: error: invalid operand (violates constant bus restrictions)
// NOSICI: :[[@LINE-5]]:29: error: invalid operand (violates constant bus restrictions)

v_pk_add_f16 v255, private_base, private_limit
// GFX11: v_pk_add_f16 v255, src_private_base, src_private_limit ; encoding: [0xff,0x40,0x0f,0xcc,0xed,0xdc,0x01,0x1a]
// GFX12XX: v_pk_add_f16 v255, src_private_base, src_private_limit ; encoding: [0xff,0x40,0x0f,0xcc,0xed,0xdc,0x01,0x1a]
// NOCI: :[[@LINE-3]]:1: error: instruction not supported on this GPU (bonaire): v_pk_add_f16
// NOGFX9: :[[@LINE-4]]:34: error: invalid operand (violates constant bus restrictions)
// NOSI: :[[@LINE-5]]:1: error: instruction not supported on this GPU (tahiti): v_pk_add_f16
// NOVI: :[[@LINE-6]]:1: error: instruction not supported on this GPU (tonga): v_pk_add_f16
// NOSICIVI: :[[@LINE-1]]:1: error: instruction not supported on this GPU

v_pk_add_f16 v255, vccz, execz
// NOCI: :[[@LINE-1]]:1: error: instruction not supported on this GPU (bonaire): v_pk_add_f16
// NOGFX11: :[[@LINE-2]]:20: error: src_vccz register not available on this GPU
// NOGFX12: :[[@LINE-3]]:20: error: src_vccz register not available on this GPU
// NOGFX1250: :[[@LINE-4]]:20: error: src_vccz register not available on this GPU
// NOGFX9: :[[@LINE-5]]:26: error: invalid operand (violates constant bus restrictions)
// NOSI: :[[@LINE-6]]:1: error: instruction not supported on this GPU (tahiti): v_pk_add_f16
// NOVI: :[[@LINE-7]]:1: error: instruction not supported on this GPU (tonga): v_pk_add_f16
// NOSICIVI: :[[@LINE-1]]:1: error: instruction not supported on this GPU

//---------------------------------------------------------------------------//
// check lit() syntax.
//---------------------------------------------------------------------------//

v_sqrt_f32 v2, lit(123)
// GFX11: v_sqrt_f32_e32 v2, lit(0x7b)            ; encoding: [0xff,0x66,0x04,0x7e,0x7b,0x00,0x00,0x00]
// GFX12: v_sqrt_f32_e32 v2, lit(0x7b)            ; encoding: [0xff,0x66,0x04,0x7e,0x7b,0x00,0x00,0x00]
// GFX1250-ASM: v_sqrt_f32_e32 v2, lit(0x7b)            ; encoding: [0xff,0x66,0x04,0x7e,0x7b,0x00,0x00,0x00]
// GFX1250-DIS: v_sqrt_f32_e32 v2, 0x7b                 ; encoding: [0xff,0x66,0x04,0x7e,0x7b,0x00,0x00,0x00]
// GFX89: v_sqrt_f32_e32 v2, lit(0x7b)            ; encoding: [0xff,0x4e,0x04,0x7e,0x7b,0x00,0x00,0x00]
// SICI: v_sqrt_f32_e32 v2, lit(0x7b)            ; encoding: [0xff,0x66,0x04,0x7e,0x7b,0x00,0x00,0x00]

v_sqrt_f32 v2, abs(lit(123))
// GFX11: v_sqrt_f32_e32 v2, lit(0x7b)            ; encoding: [0xff,0x66,0x04,0x7e,0x7b,0x00,0x00,0x00]
// GFX12: v_sqrt_f32_e32 v2, lit(0x7b)            ; encoding: [0xff,0x66,0x04,0x7e,0x7b,0x00,0x00,0x00]
// GFX1250-ASM: v_sqrt_f32_e32 v2, lit(0x7b)            ; encoding: [0xff,0x66,0x04,0x7e,0x7b,0x00,0x00,0x00]
// GFX1250-DIS: v_sqrt_f32_e32 v2, 0x7b                 ; encoding: [0xff,0x66,0x04,0x7e,0x7b,0x00,0x00,0x00]
// GFX89: v_sqrt_f32_e32 v2, lit(0x7b)            ; encoding: [0xff,0x4e,0x04,0x7e,0x7b,0x00,0x00,0x00]
// SICI: v_sqrt_f32_e32 v2, lit(0x7b)            ; encoding: [0xff,0x66,0x04,0x7e,0x7b,0x00,0x00,0x00]

v_sqrt_f32 v2, lit(123.0)
// GFX11: v_sqrt_f32_e32 v2, lit(0x42f60000)      ; encoding: [0xff,0x66,0x04,0x7e,0x00,0x00,0xf6,0x42]
// GFX12: v_sqrt_f32_e32 v2, lit(0x42f60000)      ; encoding: [0xff,0x66,0x04,0x7e,0x00,0x00,0xf6,0x42]
// GFX1250-ASM: v_sqrt_f32_e32 v2, lit(0x42f60000)      ; encoding: [0xff,0x66,0x04,0x7e,0x00,0x00,0xf6,0x42]
// GFX1250-DIS: v_sqrt_f32_e32 v2, 0x42f60000           ; encoding: [0xff,0x66,0x04,0x7e,0x00,0x00,0xf6,0x42]
// GFX89: v_sqrt_f32_e32 v2, lit(0x42f60000)      ; encoding: [0xff,0x4e,0x04,0x7e,0x00,0x00,0xf6,0x42]
// SICI: v_sqrt_f32_e32 v2, lit(0x42f60000)      ; encoding: [0xff,0x66,0x04,0x7e,0x00,0x00,0xf6,0x42]

v_sqrt_f64 v[2:3], lit(123.0)
// GFX11: v_sqrt_f64_e32 v[2:3], lit(0x405ec000)  ; encoding: [0xff,0x68,0x04,0x7e,0x00,0xc0,0x5e,0x40]
// GFX12: v_sqrt_f64_e32 v[2:3], lit(0x405ec000)  ; encoding: [0xff,0x68,0x04,0x7e,0x00,0xc0,0x5e,0x40]
// GFX1250-ASM: v_sqrt_f64_e32 v[2:3], lit(0x405ec000)  ; encoding: [0xff,0x68,0x04,0x7e,0x00,0xc0,0x5e,0x40]
// GFX1250-DIS: v_sqrt_f64_e32 v[2:3], 0x405ec000       ; encoding: [0xff,0x68,0x04,0x7e,0x00,0xc0,0x5e,0x40]
// GFX89: v_sqrt_f64_e32 v[2:3], lit(0x405ec000)  ; encoding: [0xff,0x50,0x04,0x7e,0x00,0xc0,0x5e,0x40]
// SICI: v_sqrt_f64_e32 v[2:3], lit(0x405ec000)  ; encoding: [0xff,0x68,0x04,0x7e,0x00,0xc0,0x5e,0x40]

v_sqrt_f64 v[2:3], lit(123)
// GFX11: v_sqrt_f64_e32 v[2:3], lit(0x7b)        ; encoding: [0xff,0x68,0x04,0x7e,0x7b,0x00,0x00,0x00]
// GFX12: v_sqrt_f64_e32 v[2:3], lit(0x7b)        ; encoding: [0xff,0x68,0x04,0x7e,0x7b,0x00,0x00,0x00]
// GFX1250-ASM: v_sqrt_f64_e32 v[2:3], lit(0x7b)        ; encoding: [0xff,0x68,0x04,0x7e,0x7b,0x00,0x00,0x00]
// GFX1250-DIS: v_sqrt_f64_e32 v[2:3], 0x7b             ; encoding: [0xff,0x68,0x04,0x7e,0x7b,0x00,0x00,0x00]
// GFX89: v_sqrt_f64_e32 v[2:3], lit(0x7b)        ; encoding: [0xff,0x50,0x04,0x7e,0x7b,0x00,0x00,0x00]
// SICI: v_sqrt_f64_e32 v[2:3], lit(0x7b)        ; encoding: [0xff,0x68,0x04,0x7e,0x7b,0x00,0x00,0x00]

v_sqrt_f32 v2, lit 123.0
// NOGCN: :[[@LINE-1]]:20: error: expected left paren after lit

v_sqrt_f32 v2, lit(123.0
// NOGCN: :[[@LINE-1]]:25: error: expected closing parentheses

v_sqrt_f32 v2, lit(v1)
// NOGCN: :[[@LINE-1]]:20: error: expected immediate with lit modifier

// Make sure lit() is accepted on operands without modifiers.

v_madak_f32 v4, lit(0x7e8), v8, lit(0x7e8)
// GFX89: v_madak_f32 v4, lit(0x7e8), v8, lit(0x7e8) ; encoding: [0xff,0x10,0x08,0x30,0xe8,0x07,0x00,0x00]
// NOGFX11: :[[@LINE-2]]:1: error: instruction not supported on this GPU (gfx1100): v_madak_f32
// NOGFX12: :[[@LINE-3]]:1: error: instruction not supported on this GPU (gfx1200): v_madak_f32
// NOGFX1250: :[[@LINE-4]]:1: error: instruction not supported on this GPU (gfx1250): v_madak_f32
// SICI: v_madak_f32 v4, lit(0x7e8), v8, lit(0x7e8) ; encoding: [0xff,0x10,0x08,0x42,0xe8,0x07,0x00,0x00]

v_madak_f32 v4, lit(lit(0x7e8)), v8, lit(0x7e8)
// NOGFX11: :[[@LINE-1]]:1: error: instruction not supported on this GPU (gfx1100): v_madak_f32
// NOGFX12: :[[@LINE-2]]:1: error: instruction not supported on this GPU (gfx1200): v_madak_f32
// NOGFX1250: :[[@LINE-3]]:1: error: instruction not supported on this GPU (gfx1250): v_madak_f32
// NOGFX89: :[[@LINE-4]]:24: error: not a valid operand.
// NOSICI: :[[@LINE-5]]:24: error: not a valid operand.

v_fract_f64_e32 v[0:1], lit64(1.0)
// GFX1250: v_fract_f64_e32 v[0:1], lit64(0x3ff0000000000000) ; encoding: [0xfe,0x7c,0x00,0x7e,0x00,0x00,0x00,0x00,0x00,0x00,0xf0,0x3f]
// NOGFX11: :[[@LINE-2]]:25: error: lit64 is not supported on this GPU
// NOGFX12: :[[@LINE-3]]:25: error: lit64 is not supported on this GPU
// NOGFX89: :[[@LINE-4]]:25: error: lit64 is not supported on this GPU
// NOSICI: :[[@LINE-5]]:25: error: lit64 is not supported on this GPU

v_fract_f64_e32 v[0:1], lit64(0x123456789)
// GFX1250-ASM: v_fract_f64_e32 v[0:1], lit64(0x123456789) ; encoding: [0xfe,0x7c,0x00,0x7e,0x89,0x67,0x45,0x23,0x01,0x00,0x00,0x00]
// GFX1250-DIS: v_fract_f64_e32 v[0:1], 0x123456789     ; encoding: [0xfe,0x7c,0x00,0x7e,0x89,0x67,0x45,0x23,0x01,0x00,0x00,0x00]
// NOGFX11: :[[@LINE-3]]:25: error: lit64 is not supported on this GPU
// NOGFX12: :[[@LINE-4]]:25: error: lit64 is not supported on this GPU
// NOGFX89: :[[@LINE-5]]:25: error: lit64 is not supported on this GPU
// NOSICI: :[[@LINE-6]]:25: error: lit64 is not supported on this GPU

v_fract_f64_e32 v[0:1], lit64(1e52)
// GFX1250-ASM: v_fract_f64_e32 v[0:1], lit64(0x4ababa4714957d30) ; encoding: [0xfe,0x7c,0x00,0x7e,0x30,0x7d,0x95,0x14,0x47,0xba,0xba,0x4a]
// GFX1250-DIS: v_fract_f64_e32 v[0:1], 0x4ababa4714957d30 ; encoding: [0xfe,0x7c,0x00,0x7e,0x30,0x7d,0x95,0x14,0x47,0xba,0xba,0x4a]
// NOGFX11: :[[@LINE-3]]:25: error: lit64 is not supported on this GPU
// NOGFX12: :[[@LINE-4]]:25: error: lit64 is not supported on this GPU
// NOGFX89: :[[@LINE-5]]:25: error: lit64 is not supported on this GPU
// NOSICI: :[[@LINE-6]]:25: error: lit64 is not supported on this GPU

v_add_nc_u64 v[0:1], v[0:1], lit(1)
// GFX1250: v_add_nc_u64_e64 v[0:1], v[0:1], lit(0x1) ; encoding: [0x00,0x00,0x28,0xd5,0x00,0xff,0x01,0x02,0x01,0x00,0x00,0x00]
// NOCI: :[[@LINE-2]]:1: error: instruction not supported on this GPU (bonaire): v_add_nc_u64
// NOGFX11: :[[@LINE-3]]:1: error: instruction not supported on this GPU (gfx1100): v_add_nc_u64
// NOGFX12: :[[@LINE-4]]:1: error: instruction not supported on this GPU (gfx1200): v_add_nc_u64
// NOGFX9: :[[@LINE-5]]:1: error: instruction not supported on this GPU (gfx900): v_add_nc_u64
// NOSI: :[[@LINE-6]]:1: error: instruction not supported on this GPU (tahiti): v_add_nc_u64
// NOVI: :[[@LINE-7]]:1: error: instruction not supported on this GPU (tonga): v_add_nc_u64

v_add_nc_u64 v[0:1], v[0:1], lit64(1)
// NOCI: :[[@LINE-1]]:1: error: instruction not supported on this GPU (bonaire): v_add_nc_u64
// NOGFX11: :[[@LINE-2]]:1: error: instruction not supported on this GPU (gfx1100): v_add_nc_u64
// NOGFX12: :[[@LINE-3]]:1: error: instruction not supported on this GPU (gfx1200): v_add_nc_u64
// NOGFX1250: :[[@LINE-4]]:36: error: invalid operand for instruction
// NOGFX9: :[[@LINE-5]]:1: error: instruction not supported on this GPU (gfx900): v_add_nc_u64
// NOSI: :[[@LINE-6]]:1: error: instruction not supported on this GPU (tahiti): v_add_nc_u64
// NOVI: :[[@LINE-7]]:1: error: instruction not supported on this GPU (tonga): v_add_nc_u64

v_add_nc_u64 v[0:1], v[0:1], 1
// GFX1250: v_add_nc_u64_e64 v[0:1], v[0:1], 1      ; encoding: [0x00,0x00,0x28,0xd5,0x00,0x03,0x01,0x02]
// NOCI: :[[@LINE-2]]:1: error: instruction not supported on this GPU (bonaire): v_add_nc_u64
// NOGFX11: :[[@LINE-3]]:1: error: instruction not supported on this GPU (gfx1100): v_add_nc_u64
// NOGFX12: :[[@LINE-4]]:1: error: instruction not supported on this GPU (gfx1200): v_add_nc_u64
// NOGFX9: :[[@LINE-5]]:1: error: instruction not supported on this GPU (gfx900): v_add_nc_u64
// NOSI: :[[@LINE-6]]:1: error: instruction not supported on this GPU (tahiti): v_add_nc_u64
// NOVI: :[[@LINE-7]]:1: error: instruction not supported on this GPU (tonga): v_add_nc_u64

v_add_nc_u64 v[0:1], v[0:1], 0x12345678
// GFX1250: v_add_nc_u64_e64 v[0:1], v[0:1], 0x12345678 ; encoding: [0x00,0x00,0x28,0xd5,0x00,0xff,0x01,0x02,0x78,0x56,0x34,0x12]
// NOCI: :[[@LINE-2]]:1: error: instruction not supported on this GPU (bonaire): v_add_nc_u64
// NOGFX11: :[[@LINE-3]]:1: error: instruction not supported on this GPU (gfx1100): v_add_nc_u64
// NOGFX12: :[[@LINE-4]]:1: error: instruction not supported on this GPU (gfx1200): v_add_nc_u64
// NOGFX9: :[[@LINE-5]]:1: error: instruction not supported on this GPU (gfx900): v_add_nc_u64
// NOSI: :[[@LINE-6]]:1: error: instruction not supported on this GPU (tahiti): v_add_nc_u64
// NOVI: :[[@LINE-7]]:1: error: instruction not supported on this GPU (tonga): v_add_nc_u64

v_add_nc_u64 v[0:1], v[0:1], lit(0x12345678)
// GFX1250-ASM: v_add_nc_u64_e64 v[0:1], v[0:1], lit(0x12345678) ; encoding: [0x00,0x00,0x28,0xd5,0x00,0xff,0x01,0x02,0x78,0x56,0x34,0x12]
// GFX1250-DIS: v_add_nc_u64_e64 v[0:1], v[0:1], 0x12345678 ; encoding: [0x00,0x00,0x28,0xd5,0x00,0xff,0x01,0x02,0x78,0x56,0x34,0x12]
// NOCI: :[[@LINE-3]]:1: error: instruction not supported on this GPU (bonaire): v_add_nc_u64
// NOGFX11: :[[@LINE-4]]:1: error: instruction not supported on this GPU (gfx1100): v_add_nc_u64
// NOGFX12: :[[@LINE-5]]:1: error: instruction not supported on this GPU (gfx1200): v_add_nc_u64
// NOGFX9: :[[@LINE-6]]:1: error: instruction not supported on this GPU (gfx900): v_add_nc_u64
// NOSI: :[[@LINE-7]]:1: error: instruction not supported on this GPU (tahiti): v_add_nc_u64
// NOVI: :[[@LINE-8]]:1: error: instruction not supported on this GPU (tonga): v_add_nc_u64

v_add_nc_u64 v[0:1], v[0:1], 0x123456789
// NOCI: :[[@LINE-1]]:1: error: instruction not supported on this GPU (bonaire): v_add_nc_u64
// NOGFX11: :[[@LINE-2]]:1: error: instruction not supported on this GPU (gfx1100): v_add_nc_u64
// NOGFX12: :[[@LINE-3]]:1: error: instruction not supported on this GPU (gfx1200): v_add_nc_u64
// NOGFX1250: :[[@LINE-4]]:30: error: invalid operand for instruction
// NOGFX9: :[[@LINE-5]]:1: error: instruction not supported on this GPU (gfx900): v_add_nc_u64
// NOSI: :[[@LINE-6]]:1: error: instruction not supported on this GPU (tahiti): v_add_nc_u64
// NOVI: :[[@LINE-7]]:1: error: instruction not supported on this GPU (tonga): v_add_nc_u64

v_add_nc_u64 v[0:1], v[0:1], lit(0x123456789)
// NOCI: :[[@LINE-1]]:1: error: instruction not supported on this GPU (bonaire): v_add_nc_u64
// NOGFX11: :[[@LINE-2]]:1: error: instruction not supported on this GPU (gfx1100): v_add_nc_u64
// NOGFX12: :[[@LINE-3]]:1: error: instruction not supported on this GPU (gfx1200): v_add_nc_u64
// NOGFX1250: :[[@LINE-4]]:34: error: literal value out of range
// NOGFX9: :[[@LINE-5]]:1: error: instruction not supported on this GPU (gfx900): v_add_nc_u64
// NOSI: :[[@LINE-6]]:1: error: instruction not supported on this GPU (tahiti): v_add_nc_u64
// NOVI: :[[@LINE-7]]:1: error: instruction not supported on this GPU (tonga): v_add_nc_u64

v_add_f64 v[0:1], v[0:1], lit(1)
// GFX11: v_add_f64 v[0:1], v[0:1], lit(0x1)      ; encoding: [0x00,0x00,0x27,0xd7,0x00,0xff,0x01,0x02,0x01,0x00,0x00,0x00]
// GFX12: v_add_f64_e64 v[0:1], v[0:1], lit(0x1)  ; encoding: [0x00,0x00,0x02,0xd5,0x00,0xff,0x01,0x02,0x01,0x00,0x00,0x00]
// GFX1250-ASM: v_add_f64_e64 v[0:1], v[0:1], lit(0x1)  ; encoding: [0x00,0x00,0x02,0xd5,0x00,0xff,0x01,0x02,0x01,0x00,0x00,0x00]
// GFX1250-DIS: v_add_f64_e64 v[0:1], v[0:1], 0x1       ; encoding: [0x00,0x00,0x02,0xd5,0x00,0xff,0x01,0x02,0x01,0x00,0x00,0x00]
// NOGFX89: :[[@LINE-5]]:31: error: literal operands are not supported
// NOSICI: :[[@LINE-6]]:31: error: literal operands are not supported

v_add_f64 v[0:1], v[0:1], lit(1.0)
// GFX11: v_add_f64 v[0:1], v[0:1], lit(0x3ff00000) ; encoding: [0x00,0x00,0x27,0xd7,0x00,0xff,0x01,0x02,0x00,0x00,0xf0,0x3f]
// GFX12XX: v_add_f64_e64 v[0:1], v[0:1], lit(0x3ff00000) ; encoding: [0x00,0x00,0x02,0xd5,0x00,0xff,0x01,0x02,0x00,0x00,0xf0,0x3f]
// NOGFX89: :[[@LINE-3]]:31: error: literal operands are not supported
// NOSICI: :[[@LINE-4]]:31: error: literal operands are not supported

v_add_f64 v[0:1], v[0:1], lit64(1.0)
// NOGFX11: :[[@LINE-1]]:27: error: lit64 is not supported on this GPU
// NOGFX12: :[[@LINE-2]]:27: error: lit64 is not supported on this GPU
// NOGFX1250: :[[@LINE-3]]:33: error: invalid operand for instruction
// NOGFX89: :[[@LINE-4]]:27: error: lit64 is not supported on this GPU
// NOSICI: :[[@LINE-5]]:27: error: lit64 is not supported on this GPU

v_add_f64 v[0:1], v[0:1], lit(0x3ff00000)
// GFX11: v_add_f64 v[0:1], v[0:1], lit(0x3ff00000) ; encoding: [0x00,0x00,0x27,0xd7,0x00,0xff,0x01,0x02,0x00,0x00,0xf0,0x3f]
// GFX12XX: v_add_f64_e64 v[0:1], v[0:1], lit(0x3ff00000) ; encoding: [0x00,0x00,0x02,0xd5,0x00,0xff,0x01,0x02,0x00,0x00,0xf0,0x3f]
// NOGFX89: :[[@LINE-3]]:31: error: literal operands are not supported
// NOSICI: :[[@LINE-4]]:31: error: literal operands are not supported

v_add_f64 v[0:1], v[0:1], 0x3ff00000
// GFX11: v_add_f64 v[0:1], v[0:1], 1.0           ; encoding: [0x00,0x00,0x27,0xd7,0x00,0xe5,0x01,0x02]
// GFX12XX: v_add_f64_e64 v[0:1], v[0:1], 1.0       ; encoding: [0x00,0x00,0x02,0xd5,0x00,0xe5,0x01,0x02]
// GFX89: v_add_f64 v[0:1], v[0:1], 1.0           ; encoding: [0x00,0x00,0x80,0xd2,0x00,0xe5,0x01,0x00]
// SICI: v_add_f64 v[0:1], v[0:1], 1.0           ; encoding: [0x00,0x00,0xc8,0xd2,0x00,0xe5,0x01,0x00]

v_add_f64 v[0:1], v[0:1], lit64(0x3ff00000)
// NOGFX11: :[[@LINE-1]]:27: error: lit64 is not supported on this GPU
// NOGFX12: :[[@LINE-2]]:27: error: lit64 is not supported on this GPU
// NOGFX1250: :[[@LINE-3]]:33: error: invalid operand for instruction
// NOGFX89: :[[@LINE-4]]:27: error: lit64 is not supported on this GPU
// NOSICI: :[[@LINE-5]]:27: error: lit64 is not supported on this GPU

v_add_f64 v[0:1], v[0:1], 0x3ff000001
// NOGFX11: :[[@LINE-1]]:19: error: invalid operand for instruction
// NOGFX12: :[[@LINE-2]]:19: error: invalid operand for instruction
// NOGFX1250: :[[@LINE-3]]:27: error: invalid operand for instruction
// NOGFX89: :[[@LINE-4]]:19: error: invalid operand for instruction
// NOSICI: :[[@LINE-5]]:19: error: invalid operand for instruction

v_add_f64 v[0:1], v[0:1], lit(0x3ff000001)
// NOGCN: :[[@LINE-1]]:31: error: literal value out of range
